;; amdgpu-corpus repo=ROCm/vllm kind=compiled arch=gfx906 opt=O3
	.amdgcn_target "amdgcn-amd-amdhsa--gfx906"
	.amdhsa_code_object_version 6
	.section	.text._ZN4vllm18act_and_mul_kernelIfTnPFT_RKS1_EXadL_ZNS_11silu_kernelIfEES1_S3_EELb1EEEvPS1_PS2_i,"axG",@progbits,_ZN4vllm18act_and_mul_kernelIfTnPFT_RKS1_EXadL_ZNS_11silu_kernelIfEES1_S3_EELb1EEEvPS1_PS2_i,comdat
	.protected	_ZN4vllm18act_and_mul_kernelIfTnPFT_RKS1_EXadL_ZNS_11silu_kernelIfEES1_S3_EELb1EEEvPS1_PS2_i ; -- Begin function _ZN4vllm18act_and_mul_kernelIfTnPFT_RKS1_EXadL_ZNS_11silu_kernelIfEES1_S3_EELb1EEEvPS1_PS2_i
	.globl	_ZN4vllm18act_and_mul_kernelIfTnPFT_RKS1_EXadL_ZNS_11silu_kernelIfEES1_S3_EELb1EEEvPS1_PS2_i
	.p2align	8
	.type	_ZN4vllm18act_and_mul_kernelIfTnPFT_RKS1_EXadL_ZNS_11silu_kernelIfEES1_S3_EELb1EEEvPS1_PS2_i,@function
_ZN4vllm18act_and_mul_kernelIfTnPFT_RKS1_EXadL_ZNS_11silu_kernelIfEES1_S3_EELb1EEEvPS1_PS2_i: ; @_ZN4vllm18act_and_mul_kernelIfTnPFT_RKS1_EXadL_ZNS_11silu_kernelIfEES1_S3_EELb1EEEvPS1_PS2_i
; %bb.0:
	s_load_dword s0, s[4:5], 0x10
	s_waitcnt lgkmcnt(0)
	v_cmp_gt_i32_e32 vcc, s0, v0
	s_and_saveexec_b64 s[2:3], vcc
	s_cbranch_execz .LBB0_3
; %bb.1:
	s_load_dwordx4 s[8:11], s[4:5], 0x0
	s_load_dword s12, s[4:5], 0x24
	s_ashr_i32 s1, s0, 31
	s_mul_hi_u32 s2, s6, s0
	s_mul_i32 s3, s6, s1
	s_add_i32 s3, s2, s3
	s_mul_i32 s2, s6, s0
	s_lshl_b64 s[6:7], s[2:3], 3
	s_waitcnt lgkmcnt(0)
	s_add_u32 s4, s10, s6
	s_addc_u32 s10, s11, s7
	s_lshl_b64 s[6:7], s[0:1], 2
	s_add_u32 s5, s4, s6
	s_addc_u32 s11, s10, s7
	s_lshl_b64 s[2:3], s[2:3], 2
	s_add_u32 s6, s8, s2
	v_mov_b32_e32 v1, 0
	s_addc_u32 s13, s9, s3
	s_and_b32 s7, s12, 0xffff
	v_lshlrev_b32_e32 v2, 2, v0
	v_mov_b32_e32 v3, v1
	s_lshl_b32 s8, s7, 2
	s_mov_b64 s[2:3], 0
	v_mov_b32_e32 v4, s10
	v_mov_b32_e32 v5, s11
	s_mov_b32 s9, 0xbfb8aa3b
	s_mov_b32 s10, 0x42ce8ed0
	;; [unrolled: 1-line block ×3, first 2 shown]
	v_mov_b32_e32 v6, 0x7f800000
	v_mov_b32_e32 v7, s13
.LBB0_2:                                ; =>This Inner Loop Header: Depth=1
	v_add_co_u32_e32 v8, vcc, s4, v2
	v_addc_co_u32_e32 v9, vcc, v4, v3, vcc
	global_load_dword v10, v[8:9], off
	v_add_co_u32_e32 v8, vcc, s5, v2
	v_addc_co_u32_e32 v9, vcc, v5, v3, vcc
	global_load_dword v11, v[8:9], off
	s_waitcnt vmcnt(1)
	v_mul_f32_e32 v8, 0xbfb8aa3b, v10
	v_fma_f32 v9, v10, s9, -v8
	v_rndne_f32_e32 v12, v8
	v_fmac_f32_e32 v9, 0xb2a5705f, v10
	v_sub_f32_e32 v8, v8, v12
	v_add_f32_e32 v8, v8, v9
	v_cvt_i32_f32_e32 v12, v12
	v_exp_f32_e32 v8, v8
	v_cmp_nlt_f32_e32 vcc, s10, v10
	v_ldexp_f32 v8, v8, v12
	v_cndmask_b32_e32 v8, 0, v8, vcc
	v_cmp_ngt_f32_e32 vcc, s11, v10
	v_cndmask_b32_e32 v8, v6, v8, vcc
	v_add_f32_e32 v12, 1.0, v8
	v_div_scale_f32 v8, s[12:13], v12, v12, v10
	v_div_scale_f32 v9, vcc, v10, v12, v10
	v_rcp_f32_e32 v13, v8
	v_fma_f32 v14, -v8, v13, 1.0
	v_fmac_f32_e32 v13, v14, v13
	v_mul_f32_e32 v14, v9, v13
	v_fma_f32 v15, -v8, v14, v9
	v_fmac_f32_e32 v14, v15, v13
	v_fma_f32 v8, -v8, v14, v9
	v_div_fmas_f32 v13, v8, v13, v14
	v_add_co_u32_e32 v8, vcc, s6, v2
	v_addc_co_u32_e32 v9, vcc, v7, v3, vcc
	v_add_co_u32_e32 v0, vcc, s7, v0
	v_addc_co_u32_e32 v1, vcc, 0, v1, vcc
	;; [unrolled: 2-line block ×3, first 2 shown]
	v_cmp_le_i64_e32 vcc, s[0:1], v[0:1]
	s_or_b64 s[2:3], vcc, s[2:3]
	v_div_fixup_f32 v10, v13, v12, v10
	s_waitcnt vmcnt(0)
	v_mul_f32_e32 v10, v11, v10
	global_store_dword v[8:9], v10, off
	s_andn2_b64 exec, exec, s[2:3]
	s_cbranch_execnz .LBB0_2
.LBB0_3:
	s_endpgm
	.section	.rodata,"a",@progbits
	.p2align	6, 0x0
	.amdhsa_kernel _ZN4vllm18act_and_mul_kernelIfTnPFT_RKS1_EXadL_ZNS_11silu_kernelIfEES1_S3_EELb1EEEvPS1_PS2_i
		.amdhsa_group_segment_fixed_size 0
		.amdhsa_private_segment_fixed_size 0
		.amdhsa_kernarg_size 280
		.amdhsa_user_sgpr_count 6
		.amdhsa_user_sgpr_private_segment_buffer 1
		.amdhsa_user_sgpr_dispatch_ptr 0
		.amdhsa_user_sgpr_queue_ptr 0
		.amdhsa_user_sgpr_kernarg_segment_ptr 1
		.amdhsa_user_sgpr_dispatch_id 0
		.amdhsa_user_sgpr_flat_scratch_init 0
		.amdhsa_user_sgpr_private_segment_size 0
		.amdhsa_uses_dynamic_stack 0
		.amdhsa_system_sgpr_private_segment_wavefront_offset 0
		.amdhsa_system_sgpr_workgroup_id_x 1
		.amdhsa_system_sgpr_workgroup_id_y 0
		.amdhsa_system_sgpr_workgroup_id_z 0
		.amdhsa_system_sgpr_workgroup_info 0
		.amdhsa_system_vgpr_workitem_id 0
		.amdhsa_next_free_vgpr 16
		.amdhsa_next_free_sgpr 14
		.amdhsa_reserve_vcc 1
		.amdhsa_reserve_flat_scratch 0
		.amdhsa_float_round_mode_32 0
		.amdhsa_float_round_mode_16_64 0
		.amdhsa_float_denorm_mode_32 3
		.amdhsa_float_denorm_mode_16_64 3
		.amdhsa_dx10_clamp 1
		.amdhsa_ieee_mode 1
		.amdhsa_fp16_overflow 0
		.amdhsa_exception_fp_ieee_invalid_op 0
		.amdhsa_exception_fp_denorm_src 0
		.amdhsa_exception_fp_ieee_div_zero 0
		.amdhsa_exception_fp_ieee_overflow 0
		.amdhsa_exception_fp_ieee_underflow 0
		.amdhsa_exception_fp_ieee_inexact 0
		.amdhsa_exception_int_div_zero 0
	.end_amdhsa_kernel
	.section	.text._ZN4vllm18act_and_mul_kernelIfTnPFT_RKS1_EXadL_ZNS_11silu_kernelIfEES1_S3_EELb1EEEvPS1_PS2_i,"axG",@progbits,_ZN4vllm18act_and_mul_kernelIfTnPFT_RKS1_EXadL_ZNS_11silu_kernelIfEES1_S3_EELb1EEEvPS1_PS2_i,comdat
.Lfunc_end0:
	.size	_ZN4vllm18act_and_mul_kernelIfTnPFT_RKS1_EXadL_ZNS_11silu_kernelIfEES1_S3_EELb1EEEvPS1_PS2_i, .Lfunc_end0-_ZN4vllm18act_and_mul_kernelIfTnPFT_RKS1_EXadL_ZNS_11silu_kernelIfEES1_S3_EELb1EEEvPS1_PS2_i
                                        ; -- End function
	.set _ZN4vllm18act_and_mul_kernelIfTnPFT_RKS1_EXadL_ZNS_11silu_kernelIfEES1_S3_EELb1EEEvPS1_PS2_i.num_vgpr, 16
	.set _ZN4vllm18act_and_mul_kernelIfTnPFT_RKS1_EXadL_ZNS_11silu_kernelIfEES1_S3_EELb1EEEvPS1_PS2_i.num_agpr, 0
	.set _ZN4vllm18act_and_mul_kernelIfTnPFT_RKS1_EXadL_ZNS_11silu_kernelIfEES1_S3_EELb1EEEvPS1_PS2_i.numbered_sgpr, 14
	.set _ZN4vllm18act_and_mul_kernelIfTnPFT_RKS1_EXadL_ZNS_11silu_kernelIfEES1_S3_EELb1EEEvPS1_PS2_i.num_named_barrier, 0
	.set _ZN4vllm18act_and_mul_kernelIfTnPFT_RKS1_EXadL_ZNS_11silu_kernelIfEES1_S3_EELb1EEEvPS1_PS2_i.private_seg_size, 0
	.set _ZN4vllm18act_and_mul_kernelIfTnPFT_RKS1_EXadL_ZNS_11silu_kernelIfEES1_S3_EELb1EEEvPS1_PS2_i.uses_vcc, 1
	.set _ZN4vllm18act_and_mul_kernelIfTnPFT_RKS1_EXadL_ZNS_11silu_kernelIfEES1_S3_EELb1EEEvPS1_PS2_i.uses_flat_scratch, 0
	.set _ZN4vllm18act_and_mul_kernelIfTnPFT_RKS1_EXadL_ZNS_11silu_kernelIfEES1_S3_EELb1EEEvPS1_PS2_i.has_dyn_sized_stack, 0
	.set _ZN4vllm18act_and_mul_kernelIfTnPFT_RKS1_EXadL_ZNS_11silu_kernelIfEES1_S3_EELb1EEEvPS1_PS2_i.has_recursion, 0
	.set _ZN4vllm18act_and_mul_kernelIfTnPFT_RKS1_EXadL_ZNS_11silu_kernelIfEES1_S3_EELb1EEEvPS1_PS2_i.has_indirect_call, 0
	.section	.AMDGPU.csdata,"",@progbits
; Kernel info:
; codeLenInByte = 412
; TotalNumSgprs: 18
; NumVgprs: 16
; ScratchSize: 0
; MemoryBound: 0
; FloatMode: 240
; IeeeMode: 1
; LDSByteSize: 0 bytes/workgroup (compile time only)
; SGPRBlocks: 2
; VGPRBlocks: 3
; NumSGPRsForWavesPerEU: 18
; NumVGPRsForWavesPerEU: 16
; Occupancy: 10
; WaveLimiterHint : 0
; COMPUTE_PGM_RSRC2:SCRATCH_EN: 0
; COMPUTE_PGM_RSRC2:USER_SGPR: 6
; COMPUTE_PGM_RSRC2:TRAP_HANDLER: 0
; COMPUTE_PGM_RSRC2:TGID_X_EN: 1
; COMPUTE_PGM_RSRC2:TGID_Y_EN: 0
; COMPUTE_PGM_RSRC2:TGID_Z_EN: 0
; COMPUTE_PGM_RSRC2:TIDIG_COMP_CNT: 0
	.section	.text._ZN4vllm18act_and_mul_kernelIN3c104HalfETnPFT_RKS3_EXadL_ZNS_11silu_kernelIS2_EES3_S5_EELb1EEEvPS3_PS4_i,"axG",@progbits,_ZN4vllm18act_and_mul_kernelIN3c104HalfETnPFT_RKS3_EXadL_ZNS_11silu_kernelIS2_EES3_S5_EELb1EEEvPS3_PS4_i,comdat
	.protected	_ZN4vllm18act_and_mul_kernelIN3c104HalfETnPFT_RKS3_EXadL_ZNS_11silu_kernelIS2_EES3_S5_EELb1EEEvPS3_PS4_i ; -- Begin function _ZN4vllm18act_and_mul_kernelIN3c104HalfETnPFT_RKS3_EXadL_ZNS_11silu_kernelIS2_EES3_S5_EELb1EEEvPS3_PS4_i
	.globl	_ZN4vllm18act_and_mul_kernelIN3c104HalfETnPFT_RKS3_EXadL_ZNS_11silu_kernelIS2_EES3_S5_EELb1EEEvPS3_PS4_i
	.p2align	8
	.type	_ZN4vllm18act_and_mul_kernelIN3c104HalfETnPFT_RKS3_EXadL_ZNS_11silu_kernelIS2_EES3_S5_EELb1EEEvPS3_PS4_i,@function
_ZN4vllm18act_and_mul_kernelIN3c104HalfETnPFT_RKS3_EXadL_ZNS_11silu_kernelIS2_EES3_S5_EELb1EEEvPS3_PS4_i: ; @_ZN4vllm18act_and_mul_kernelIN3c104HalfETnPFT_RKS3_EXadL_ZNS_11silu_kernelIS2_EES3_S5_EELb1EEEvPS3_PS4_i
; %bb.0:
	s_load_dword s2, s[4:5], 0x10
	s_waitcnt lgkmcnt(0)
	v_cmp_gt_i32_e32 vcc, s2, v0
	s_and_saveexec_b64 s[0:1], vcc
	s_cbranch_execz .LBB1_8
; %bb.1:
	v_mov_b32_e32 v1, 0
	s_ashr_i32 s3, s2, 31
	v_add_u32_e32 v2, 1, v0
	v_mov_b32_e32 v3, v1
	s_load_dwordx4 s[8:11], s[4:5], 0x0
	s_load_dword s1, s[4:5], 0x24
	v_cmp_lt_i64_e32 vcc, s[2:3], v[2:3]
	v_mov_b32_e32 v4, s3
	v_cndmask_b32_e64 v3, v4, 0, vcc
	v_mov_b32_e32 v4, s2
	s_mul_hi_u32 s0, s6, s2
	s_mul_i32 s4, s6, s3
	v_cndmask_b32_e32 v2, v4, v2, vcc
	s_add_i32 s5, s0, s4
	s_mul_i32 s4, s6, s2
	v_sub_co_u32_e32 v2, vcc, v2, v0
	s_lshl_b64 s[12:13], s[4:5], 2
	s_waitcnt lgkmcnt(0)
	s_and_b32 s16, s1, 0xffff
	v_subbrev_co_u32_e32 v3, vcc, 0, v3, vcc
	v_cmp_lt_u64_e32 vcc, 1, v[2:3]
	s_cmp_eq_u32 s16, 1
	s_cselect_b64 s[0:1], -1, 0
	s_and_b64 s[18:19], vcc, s[0:1]
	s_mov_b64 s[0:1], -1
	s_and_saveexec_b64 s[14:15], s[18:19]
	s_cbranch_execz .LBB1_5
; %bb.2:
	s_lshl_b64 s[0:1], s[4:5], 1
	v_lshlrev_b64 v[10:11], 1, v[0:1]
	s_add_u32 s0, s8, s0
	s_mov_b32 s7, 0
	s_addc_u32 s1, s9, s1
	v_mov_b32_e32 v1, s1
	v_add_co_u32_e32 v6, vcc, s0, v10
	s_lshl_b64 s[0:1], s[6:7], 2
	s_or_b32 s0, s0, 2
	s_mul_i32 s6, s0, s3
	s_mul_hi_u32 s7, s0, s2
	s_add_i32 s6, s7, s6
	s_mul_i32 s1, s1, s2
	s_add_i32 s6, s6, s1
	s_mul_i32 s0, s0, s2
	s_add_u32 s0, s10, s0
	v_addc_co_u32_e32 v7, vcc, v1, v11, vcc
	s_addc_u32 s1, s11, s6
	v_mov_b32_e32 v1, s1
	v_add_co_u32_e32 v8, vcc, s0, v10
	s_add_u32 s0, s10, s12
	v_mov_b32_e32 v5, v3
	v_addc_co_u32_e32 v9, vcc, v1, v11, vcc
	s_addc_u32 s1, s11, s13
	v_and_b32_e32 v4, -2, v2
	v_mov_b32_e32 v1, s1
	v_add_co_u32_e32 v10, vcc, s0, v10
	v_mov_b32_e32 v13, v5
	v_addc_co_u32_e32 v11, vcc, v1, v11, vcc
	s_mov_b64 s[0:1], 0
	s_mov_b32 s6, 0x3fb8aa3b
	s_mov_b32 s7, 0x32a5705f
	;; [unrolled: 1-line block ×4, first 2 shown]
	v_mov_b32_e32 v1, 0x7f800000
	v_mov_b32_e32 v12, v4
.LBB1_3:                                ; =>This Inner Loop Header: Depth=1
	global_load_dword v14, v[10:11], off
	global_load_dword v15, v[8:9], off
	s_waitcnt vmcnt(1)
	v_cvt_f32_f16_sdwa v18, -v14 dst_sel:DWORD dst_unused:UNUSED_PAD src0_sel:WORD_1
	v_cvt_f32_f16_e64 v19, -v14
	v_cvt_f32_f16_sdwa v16, v14 dst_sel:DWORD dst_unused:UNUSED_PAD src0_sel:WORD_1
	v_cvt_f32_f16_e32 v17, v14
	v_mul_f32_e32 v20, 0x3fb8aa3b, v18
	v_rndne_f32_e32 v21, v20
	v_sub_f32_e32 v22, v20, v21
	v_fma_mix_f32 v20, -v14, s6, -v20 op_sel:[1,0,0] op_sel_hi:[1,0,0]
	v_fma_mix_f32 v20, -v14, s7, v20 op_sel:[1,0,0] op_sel_hi:[1,0,0]
	v_add_f32_e32 v20, v22, v20
	v_exp_f32_e32 v20, v20
	v_cvt_i32_f32_e32 v21, v21
	v_cmp_ngt_f32_e32 vcc, s17, v18
	v_ldexp_f32 v20, v20, v21
	v_cndmask_b32_e32 v20, 0, v20, vcc
	v_cmp_nlt_f32_e32 vcc, s18, v18
	v_cndmask_b32_e32 v18, v1, v20, vcc
	v_mul_f32_e32 v20, 0x3fb8aa3b, v19
	v_rndne_f32_e32 v21, v20
	v_sub_f32_e32 v22, v20, v21
	v_fma_mix_f32 v20, -v14, s6, -v20 op_sel_hi:[1,0,0]
	v_fma_mix_f32 v14, -v14, s7, v20 op_sel_hi:[1,0,0]
	v_add_f32_e32 v14, v22, v14
	v_exp_f32_e32 v14, v14
	v_cvt_i32_f32_e32 v20, v21
	v_cmp_ngt_f32_e32 vcc, s17, v19
	v_add_f32_e32 v18, 1.0, v18
	v_ldexp_f32 v14, v14, v20
	v_cndmask_b32_e32 v14, 0, v14, vcc
	v_cmp_nlt_f32_e32 vcc, s18, v19
	v_div_scale_f32 v19, s[20:21], v18, v18, v16
	v_cndmask_b32_e32 v14, v1, v14, vcc
	v_add_f32_e32 v14, 1.0, v14
	v_rcp_f32_e32 v20, v19
	v_fma_f32 v21, -v19, v20, 1.0
	v_fmac_f32_e32 v20, v21, v20
	v_div_scale_f32 v21, vcc, v16, v18, v16
	v_mul_f32_e32 v22, v21, v20
	v_fma_f32 v23, -v19, v22, v21
	v_fmac_f32_e32 v22, v23, v20
	v_fma_f32 v19, -v19, v22, v21
	v_div_fmas_f32 v19, v19, v20, v22
	v_div_fixup_f32 v16, v19, v18, v16
	v_div_scale_f32 v18, s[20:21], v14, v14, v17
	v_cvt_f16_f32_e32 v16, v16
	v_rcp_f32_e32 v19, v18
	v_fma_f32 v20, -v18, v19, 1.0
	v_fmac_f32_e32 v19, v20, v19
	v_div_scale_f32 v20, vcc, v17, v14, v17
	v_mul_f32_e32 v21, v20, v19
	v_fma_f32 v22, -v18, v21, v20
	v_fmac_f32_e32 v21, v22, v19
	v_fma_f32 v18, -v18, v21, v20
	v_div_fmas_f32 v18, v18, v19, v21
	v_add_co_u32_e32 v12, vcc, -2, v12
	v_addc_co_u32_e32 v13, vcc, -1, v13, vcc
	v_div_fixup_f32 v14, v18, v14, v17
	v_cvt_f16_f32_e32 v14, v14
	v_pack_b32_f16 v14, v14, v16
	s_waitcnt vmcnt(0)
	v_pk_mul_f16 v14, v15, v14
	global_store_dword v[6:7], v14, off
	v_add_co_u32_e32 v6, vcc, 4, v6
	v_addc_co_u32_e32 v7, vcc, 0, v7, vcc
	v_add_co_u32_e32 v8, vcc, 4, v8
	v_addc_co_u32_e32 v9, vcc, 0, v9, vcc
	;; [unrolled: 2-line block ×3, first 2 shown]
	v_cmp_eq_u64_e32 vcc, 0, v[12:13]
	s_or_b64 s[0:1], vcc, s[0:1]
	s_andn2_b64 exec, exec, s[0:1]
	s_cbranch_execnz .LBB1_3
; %bb.4:
	s_or_b64 exec, exec, s[0:1]
	v_cmp_ne_u64_e32 vcc, v[2:3], v[4:5]
	v_add_co_u32_e64 v0, s[0:1], v4, v0
	v_addc_co_u32_e64 v1, s[0:1], 0, v5, s[0:1]
	s_orn2_b64 s[0:1], vcc, exec
.LBB1_5:
	s_or_b64 exec, exec, s[14:15]
	s_and_b64 exec, exec, s[0:1]
	s_cbranch_execz .LBB1_8
; %bb.6:
	s_add_u32 s6, s10, s12
	s_addc_u32 s10, s11, s13
	s_lshl_b64 s[0:1], s[2:3], 1
	s_add_u32 s7, s6, s0
	s_addc_u32 s11, s10, s1
	s_lshl_b64 s[0:1], s[4:5], 1
	s_add_u32 s4, s8, s0
	s_addc_u32 s12, s9, s1
	v_lshlrev_b64 v[2:3], 1, v[0:1]
	s_lshl_b32 s5, s16, 1
	s_mov_b64 s[0:1], 0
	v_mov_b32_e32 v4, s10
	v_mov_b32_e32 v5, s11
	s_mov_b32 s8, 0x3fb8aa3b
	s_mov_b32 s9, 0x32a5705f
	;; [unrolled: 1-line block ×4, first 2 shown]
	v_mov_b32_e32 v6, 0x7f800000
	v_mov_b32_e32 v7, s12
.LBB1_7:                                ; =>This Inner Loop Header: Depth=1
	v_add_co_u32_e32 v8, vcc, s6, v2
	v_addc_co_u32_e32 v9, vcc, v4, v3, vcc
	global_load_ushort v10, v[8:9], off
	v_add_co_u32_e32 v8, vcc, s7, v2
	v_addc_co_u32_e32 v9, vcc, v5, v3, vcc
	global_load_ushort v11, v[8:9], off
	s_waitcnt vmcnt(1)
	v_cvt_f32_f16_e64 v8, -v10
	v_cvt_f32_f16_e32 v12, v10
	v_mul_f32_e32 v9, 0x3fb8aa3b, v8
	v_fma_mix_f32 v13, -v10, s8, -v9 op_sel_hi:[1,0,0]
	v_rndne_f32_e32 v14, v9
	v_fma_mix_f32 v10, -v10, s9, v13 op_sel_hi:[1,0,0]
	v_sub_f32_e32 v9, v9, v14
	v_add_f32_e32 v9, v9, v10
	v_cvt_i32_f32_e32 v13, v14
	v_exp_f32_e32 v9, v9
	v_cmp_ngt_f32_e32 vcc, s10, v8
	v_ldexp_f32 v9, v9, v13
	v_cndmask_b32_e32 v9, 0, v9, vcc
	v_cmp_nlt_f32_e32 vcc, s11, v8
	v_cndmask_b32_e32 v8, v6, v9, vcc
	v_add_f32_e32 v10, 1.0, v8
	v_div_scale_f32 v8, s[12:13], v10, v10, v12
	v_div_scale_f32 v9, vcc, v12, v10, v12
	v_rcp_f32_e32 v13, v8
	v_fma_f32 v14, -v8, v13, 1.0
	v_fmac_f32_e32 v13, v14, v13
	v_mul_f32_e32 v14, v9, v13
	v_fma_f32 v15, -v8, v14, v9
	v_fmac_f32_e32 v14, v15, v13
	v_fma_f32 v8, -v8, v14, v9
	v_div_fmas_f32 v13, v8, v13, v14
	v_add_co_u32_e32 v8, vcc, s4, v2
	v_addc_co_u32_e32 v9, vcc, v7, v3, vcc
	v_add_co_u32_e32 v0, vcc, s16, v0
	v_addc_co_u32_e32 v1, vcc, 0, v1, vcc
	;; [unrolled: 2-line block ×3, first 2 shown]
	v_cmp_le_i64_e32 vcc, s[2:3], v[0:1]
	s_or_b64 s[0:1], vcc, s[0:1]
	v_div_fixup_f32 v10, v13, v10, v12
	v_cvt_f16_f32_e32 v10, v10
	s_waitcnt vmcnt(0)
	v_mul_f16_e32 v10, v11, v10
	global_store_short v[8:9], v10, off
	s_andn2_b64 exec, exec, s[0:1]
	s_cbranch_execnz .LBB1_7
.LBB1_8:
	s_endpgm
	.section	.rodata,"a",@progbits
	.p2align	6, 0x0
	.amdhsa_kernel _ZN4vllm18act_and_mul_kernelIN3c104HalfETnPFT_RKS3_EXadL_ZNS_11silu_kernelIS2_EES3_S5_EELb1EEEvPS3_PS4_i
		.amdhsa_group_segment_fixed_size 0
		.amdhsa_private_segment_fixed_size 0
		.amdhsa_kernarg_size 280
		.amdhsa_user_sgpr_count 6
		.amdhsa_user_sgpr_private_segment_buffer 1
		.amdhsa_user_sgpr_dispatch_ptr 0
		.amdhsa_user_sgpr_queue_ptr 0
		.amdhsa_user_sgpr_kernarg_segment_ptr 1
		.amdhsa_user_sgpr_dispatch_id 0
		.amdhsa_user_sgpr_flat_scratch_init 0
		.amdhsa_user_sgpr_private_segment_size 0
		.amdhsa_uses_dynamic_stack 0
		.amdhsa_system_sgpr_private_segment_wavefront_offset 0
		.amdhsa_system_sgpr_workgroup_id_x 1
		.amdhsa_system_sgpr_workgroup_id_y 0
		.amdhsa_system_sgpr_workgroup_id_z 0
		.amdhsa_system_sgpr_workgroup_info 0
		.amdhsa_system_vgpr_workitem_id 0
		.amdhsa_next_free_vgpr 24
		.amdhsa_next_free_sgpr 22
		.amdhsa_reserve_vcc 1
		.amdhsa_reserve_flat_scratch 0
		.amdhsa_float_round_mode_32 0
		.amdhsa_float_round_mode_16_64 0
		.amdhsa_float_denorm_mode_32 3
		.amdhsa_float_denorm_mode_16_64 3
		.amdhsa_dx10_clamp 1
		.amdhsa_ieee_mode 1
		.amdhsa_fp16_overflow 0
		.amdhsa_exception_fp_ieee_invalid_op 0
		.amdhsa_exception_fp_denorm_src 0
		.amdhsa_exception_fp_ieee_div_zero 0
		.amdhsa_exception_fp_ieee_overflow 0
		.amdhsa_exception_fp_ieee_underflow 0
		.amdhsa_exception_fp_ieee_inexact 0
		.amdhsa_exception_int_div_zero 0
	.end_amdhsa_kernel
	.section	.text._ZN4vllm18act_and_mul_kernelIN3c104HalfETnPFT_RKS3_EXadL_ZNS_11silu_kernelIS2_EES3_S5_EELb1EEEvPS3_PS4_i,"axG",@progbits,_ZN4vllm18act_and_mul_kernelIN3c104HalfETnPFT_RKS3_EXadL_ZNS_11silu_kernelIS2_EES3_S5_EELb1EEEvPS3_PS4_i,comdat
.Lfunc_end1:
	.size	_ZN4vllm18act_and_mul_kernelIN3c104HalfETnPFT_RKS3_EXadL_ZNS_11silu_kernelIS2_EES3_S5_EELb1EEEvPS3_PS4_i, .Lfunc_end1-_ZN4vllm18act_and_mul_kernelIN3c104HalfETnPFT_RKS3_EXadL_ZNS_11silu_kernelIS2_EES3_S5_EELb1EEEvPS3_PS4_i
                                        ; -- End function
	.set _ZN4vllm18act_and_mul_kernelIN3c104HalfETnPFT_RKS3_EXadL_ZNS_11silu_kernelIS2_EES3_S5_EELb1EEEvPS3_PS4_i.num_vgpr, 24
	.set _ZN4vllm18act_and_mul_kernelIN3c104HalfETnPFT_RKS3_EXadL_ZNS_11silu_kernelIS2_EES3_S5_EELb1EEEvPS3_PS4_i.num_agpr, 0
	.set _ZN4vllm18act_and_mul_kernelIN3c104HalfETnPFT_RKS3_EXadL_ZNS_11silu_kernelIS2_EES3_S5_EELb1EEEvPS3_PS4_i.numbered_sgpr, 22
	.set _ZN4vllm18act_and_mul_kernelIN3c104HalfETnPFT_RKS3_EXadL_ZNS_11silu_kernelIS2_EES3_S5_EELb1EEEvPS3_PS4_i.num_named_barrier, 0
	.set _ZN4vllm18act_and_mul_kernelIN3c104HalfETnPFT_RKS3_EXadL_ZNS_11silu_kernelIS2_EES3_S5_EELb1EEEvPS3_PS4_i.private_seg_size, 0
	.set _ZN4vllm18act_and_mul_kernelIN3c104HalfETnPFT_RKS3_EXadL_ZNS_11silu_kernelIS2_EES3_S5_EELb1EEEvPS3_PS4_i.uses_vcc, 1
	.set _ZN4vllm18act_and_mul_kernelIN3c104HalfETnPFT_RKS3_EXadL_ZNS_11silu_kernelIS2_EES3_S5_EELb1EEEvPS3_PS4_i.uses_flat_scratch, 0
	.set _ZN4vllm18act_and_mul_kernelIN3c104HalfETnPFT_RKS3_EXadL_ZNS_11silu_kernelIS2_EES3_S5_EELb1EEEvPS3_PS4_i.has_dyn_sized_stack, 0
	.set _ZN4vllm18act_and_mul_kernelIN3c104HalfETnPFT_RKS3_EXadL_ZNS_11silu_kernelIS2_EES3_S5_EELb1EEEvPS3_PS4_i.has_recursion, 0
	.set _ZN4vllm18act_and_mul_kernelIN3c104HalfETnPFT_RKS3_EXadL_ZNS_11silu_kernelIS2_EES3_S5_EELb1EEEvPS3_PS4_i.has_indirect_call, 0
	.section	.AMDGPU.csdata,"",@progbits
; Kernel info:
; codeLenInByte = 1132
; TotalNumSgprs: 26
; NumVgprs: 24
; ScratchSize: 0
; MemoryBound: 0
; FloatMode: 240
; IeeeMode: 1
; LDSByteSize: 0 bytes/workgroup (compile time only)
; SGPRBlocks: 3
; VGPRBlocks: 5
; NumSGPRsForWavesPerEU: 26
; NumVGPRsForWavesPerEU: 24
; Occupancy: 10
; WaveLimiterHint : 0
; COMPUTE_PGM_RSRC2:SCRATCH_EN: 0
; COMPUTE_PGM_RSRC2:USER_SGPR: 6
; COMPUTE_PGM_RSRC2:TRAP_HANDLER: 0
; COMPUTE_PGM_RSRC2:TGID_X_EN: 1
; COMPUTE_PGM_RSRC2:TGID_Y_EN: 0
; COMPUTE_PGM_RSRC2:TGID_Z_EN: 0
; COMPUTE_PGM_RSRC2:TIDIG_COMP_CNT: 0
	.section	.text._ZN4vllm18act_and_mul_kernelIN3c108BFloat16ETnPFT_RKS3_EXadL_ZNS_11silu_kernelIS2_EES3_S5_EELb1EEEvPS3_PS4_i,"axG",@progbits,_ZN4vllm18act_and_mul_kernelIN3c108BFloat16ETnPFT_RKS3_EXadL_ZNS_11silu_kernelIS2_EES3_S5_EELb1EEEvPS3_PS4_i,comdat
	.protected	_ZN4vllm18act_and_mul_kernelIN3c108BFloat16ETnPFT_RKS3_EXadL_ZNS_11silu_kernelIS2_EES3_S5_EELb1EEEvPS3_PS4_i ; -- Begin function _ZN4vllm18act_and_mul_kernelIN3c108BFloat16ETnPFT_RKS3_EXadL_ZNS_11silu_kernelIS2_EES3_S5_EELb1EEEvPS3_PS4_i
	.globl	_ZN4vllm18act_and_mul_kernelIN3c108BFloat16ETnPFT_RKS3_EXadL_ZNS_11silu_kernelIS2_EES3_S5_EELb1EEEvPS3_PS4_i
	.p2align	8
	.type	_ZN4vllm18act_and_mul_kernelIN3c108BFloat16ETnPFT_RKS3_EXadL_ZNS_11silu_kernelIS2_EES3_S5_EELb1EEEvPS3_PS4_i,@function
_ZN4vllm18act_and_mul_kernelIN3c108BFloat16ETnPFT_RKS3_EXadL_ZNS_11silu_kernelIS2_EES3_S5_EELb1EEEvPS3_PS4_i: ; @_ZN4vllm18act_and_mul_kernelIN3c108BFloat16ETnPFT_RKS3_EXadL_ZNS_11silu_kernelIS2_EES3_S5_EELb1EEEvPS3_PS4_i
; %bb.0:
	s_load_dword s12, s[4:5], 0x10
	s_waitcnt lgkmcnt(0)
	v_cmp_gt_i32_e32 vcc, s12, v0
	s_and_saveexec_b64 s[0:1], vcc
	s_cbranch_execz .LBB2_8
; %bb.1:
	v_mov_b32_e32 v1, 0
	s_ashr_i32 s13, s12, 31
	v_add_u32_e32 v2, 1, v0
	v_mov_b32_e32 v3, v1
	s_load_dwordx4 s[8:11], s[4:5], 0x0
	s_load_dword s1, s[4:5], 0x24
	v_cmp_lt_i64_e32 vcc, s[12:13], v[2:3]
	v_mov_b32_e32 v4, s13
	v_cndmask_b32_e64 v3, v4, 0, vcc
	v_mov_b32_e32 v4, s12
	s_mul_hi_u32 s0, s6, s12
	s_mul_i32 s2, s6, s13
	v_cndmask_b32_e32 v2, v4, v2, vcc
	s_add_i32 s5, s0, s2
	s_mul_i32 s4, s6, s12
	v_sub_co_u32_e32 v2, vcc, v2, v0
	s_lshl_b64 s[14:15], s[4:5], 2
	s_waitcnt lgkmcnt(0)
	s_and_b32 s18, s1, 0xffff
	v_subbrev_co_u32_e32 v3, vcc, 0, v3, vcc
	v_cmp_lt_u64_e32 vcc, 1, v[2:3]
	s_cmp_eq_u32 s18, 1
	s_cselect_b64 s[0:1], -1, 0
	s_and_b64 s[2:3], vcc, s[0:1]
	s_mov_b64 s[0:1], -1
	s_and_saveexec_b64 s[16:17], s[2:3]
	s_cbranch_execz .LBB2_5
; %bb.2:
	s_lshl_b64 s[0:1], s[4:5], 1
	v_lshlrev_b64 v[10:11], 1, v[0:1]
	s_add_u32 s0, s8, s0
	s_mov_b32 s7, 0
	s_addc_u32 s1, s9, s1
	v_mov_b32_e32 v1, s1
	v_add_co_u32_e32 v6, vcc, s0, v10
	s_lshl_b64 s[0:1], s[6:7], 2
	s_or_b32 s0, s0, 2
	s_mul_i32 s2, s0, s13
	s_mul_hi_u32 s3, s0, s12
	s_add_i32 s2, s3, s2
	s_mul_i32 s1, s1, s12
	s_add_i32 s2, s2, s1
	s_mul_i32 s0, s0, s12
	s_add_u32 s0, s10, s0
	v_addc_co_u32_e32 v7, vcc, v1, v11, vcc
	s_addc_u32 s1, s11, s2
	v_mov_b32_e32 v1, s1
	v_add_co_u32_e32 v8, vcc, s0, v10
	s_add_u32 s0, s10, s14
	v_mov_b32_e32 v5, v3
	v_addc_co_u32_e32 v9, vcc, v1, v11, vcc
	s_addc_u32 s1, s11, s15
	v_and_b32_e32 v4, -2, v2
	v_mov_b32_e32 v1, s1
	v_add_co_u32_e32 v10, vcc, s0, v10
	v_mov_b32_e32 v13, v5
	v_addc_co_u32_e32 v11, vcc, v1, v11, vcc
	s_mov_b64 s[6:7], 0
	s_movk_i32 s19, 0x7fff
	v_mov_b32_e32 v1, 0x7fc00000
	s_mov_b32 s20, 0x3fb8aa3b
	s_mov_b32 s21, 0xc2ce8ed0
	;; [unrolled: 1-line block ×3, first 2 shown]
	v_mov_b32_e32 v14, 0x7f800000
	v_mov_b32_e32 v15, 0x7fc0
	s_mov_b32 s23, 0x5040100
	v_mov_b32_e32 v16, 1
	v_mov_b32_e32 v12, v4
.LBB2_3:                                ; =>This Inner Loop Header: Depth=1
	global_load_dword v20, v[10:11], off
	v_add_co_u32_e64 v10, s[2:3], 4, v10
	s_waitcnt vmcnt(0)
	v_lshlrev_b32_e32 v17, 16, v20
	v_xor_b32_e32 v18, 0x80000000, v17
	v_and_b32_sdwa v19, v18, v16 dst_sel:DWORD dst_unused:UNUSED_PAD src0_sel:WORD_1 src1_sel:DWORD
	v_add3_u32 v18, v18, v19, s19
	v_cmp_o_f32_e32 vcc, v17, v17
	v_and_b32_e32 v18, 0xffff0000, v18
	v_cndmask_b32_e32 v18, v1, v18, vcc
	v_mul_f32_e32 v19, 0x3fb8aa3b, v18
	v_fma_f32 v21, v18, s20, -v19
	v_cmp_ngt_f32_e32 vcc, s21, v18
	v_cmp_nlt_f32_e64 s[0:1], s22, v18
	v_fmac_f32_e32 v21, 0x32a5705f, v18
	v_rndne_f32_e32 v18, v19
	v_sub_f32_e32 v19, v19, v18
	v_add_f32_e32 v19, v19, v21
	v_cvt_i32_f32_e32 v18, v18
	v_exp_f32_e32 v19, v19
	v_and_b32_e32 v20, 0xffff0000, v20
	v_ldexp_f32 v18, v19, v18
	v_cndmask_b32_e32 v18, 0, v18, vcc
	v_cndmask_b32_e64 v18, v14, v18, s[0:1]
	v_add_f32_e32 v18, 1.0, v18
	v_div_scale_f32 v19, s[0:1], v18, v18, v17
	v_rcp_f32_e32 v21, v19
	v_fma_f32 v22, -v19, v21, 1.0
	v_fmac_f32_e32 v21, v22, v21
	v_div_scale_f32 v22, vcc, v17, v18, v17
	v_mul_f32_e32 v23, v22, v21
	v_fma_f32 v24, -v19, v23, v22
	v_fmac_f32_e32 v23, v24, v21
	v_fma_f32 v19, -v19, v23, v22
	v_div_fmas_f32 v19, v19, v21, v23
	v_xor_b32_e32 v21, 0x80000000, v20
	v_and_b32_sdwa v22, v21, v16 dst_sel:DWORD dst_unused:UNUSED_PAD src0_sel:WORD_1 src1_sel:DWORD
	v_add3_u32 v21, v21, v22, s19
	v_cmp_o_f32_e32 vcc, v20, v20
	v_and_b32_e32 v21, 0xffff0000, v21
	v_cndmask_b32_e32 v21, v1, v21, vcc
	v_mul_f32_e32 v22, 0x3fb8aa3b, v21
	v_fma_f32 v23, v21, s20, -v22
	v_cmp_ngt_f32_e32 vcc, s21, v21
	v_cmp_nlt_f32_e64 s[0:1], s22, v21
	v_fmac_f32_e32 v23, 0x32a5705f, v21
	v_rndne_f32_e32 v21, v22
	v_sub_f32_e32 v22, v22, v21
	v_add_f32_e32 v22, v22, v23
	v_cvt_i32_f32_e32 v21, v21
	v_exp_f32_e32 v22, v22
	v_div_fixup_f32 v17, v19, v18, v17
	v_and_b32_sdwa v19, v17, v16 dst_sel:DWORD dst_unused:UNUSED_PAD src0_sel:WORD_1 src1_sel:DWORD
	v_ldexp_f32 v21, v22, v21
	v_cndmask_b32_e32 v21, 0, v21, vcc
	v_cndmask_b32_e64 v21, v14, v21, s[0:1]
	v_add_f32_e32 v21, 1.0, v21
	v_div_scale_f32 v22, s[0:1], v21, v21, v20
	v_rcp_f32_e32 v23, v22
	v_fma_f32 v24, -v22, v23, 1.0
	v_fmac_f32_e32 v23, v24, v23
	v_div_scale_f32 v24, vcc, v20, v21, v20
	v_mul_f32_e32 v25, v24, v23
	v_fma_f32 v26, -v22, v25, v24
	v_fmac_f32_e32 v25, v26, v23
	v_fma_f32 v22, -v22, v25, v24
	v_div_fmas_f32 v22, v22, v23, v25
	v_cmp_o_f32_e32 vcc, v17, v17
	v_add3_u32 v17, v17, v19, s19
	v_and_b32_e32 v17, 0xffff0000, v17
	v_cndmask_b32_e32 v17, v1, v17, vcc
	v_div_fixup_f32 v18, v22, v21, v20
	v_and_b32_sdwa v19, v18, v16 dst_sel:DWORD dst_unused:UNUSED_PAD src0_sel:WORD_1 src1_sel:DWORD
	v_cmp_o_f32_e64 s[0:1], v18, v18
	v_add3_u32 v18, v18, v19, s19
	global_load_dword v19, v[8:9], off
	v_and_b32_e32 v18, 0xffff0000, v18
	v_cndmask_b32_e64 v18, v1, v18, s[0:1]
	s_waitcnt vmcnt(0)
	v_lshlrev_b32_e32 v20, 16, v19
	v_mul_f32_e32 v17, v17, v20
	v_and_b32_e32 v19, 0xffff0000, v19
	v_mul_f32_e32 v18, v18, v19
	v_and_b32_sdwa v19, v17, v16 dst_sel:DWORD dst_unused:UNUSED_PAD src0_sel:WORD_1 src1_sel:DWORD
	v_cmp_o_f32_e32 vcc, v17, v17
	v_add3_u32 v17, v17, v19, s19
	v_and_b32_sdwa v19, v18, v16 dst_sel:DWORD dst_unused:UNUSED_PAD src0_sel:WORD_1 src1_sel:DWORD
	v_cmp_o_f32_e64 s[0:1], v18, v18
	v_add3_u32 v18, v18, v19, s19
	v_lshrrev_b32_e32 v17, 16, v17
	v_lshrrev_b32_e32 v18, 16, v18
	v_cndmask_b32_e32 v17, v15, v17, vcc
	v_cndmask_b32_e64 v18, v15, v18, s[0:1]
	v_add_co_u32_e32 v12, vcc, -2, v12
	v_add_co_u32_e64 v8, s[0:1], 4, v8
	v_addc_co_u32_e32 v13, vcc, -1, v13, vcc
	v_addc_co_u32_e64 v9, vcc, 0, v9, s[0:1]
	v_addc_co_u32_e64 v11, vcc, 0, v11, s[2:3]
	v_cmp_eq_u64_e32 vcc, 0, v[12:13]
	v_perm_b32 v17, v18, v17, s23
	s_or_b64 s[6:7], vcc, s[6:7]
	global_store_dword v[6:7], v17, off
	v_add_co_u32_e32 v6, vcc, 4, v6
	v_addc_co_u32_e32 v7, vcc, 0, v7, vcc
	s_andn2_b64 exec, exec, s[6:7]
	s_cbranch_execnz .LBB2_3
; %bb.4:
	s_or_b64 exec, exec, s[6:7]
	v_cmp_ne_u64_e32 vcc, v[2:3], v[4:5]
	v_add_co_u32_e64 v0, s[0:1], v4, v0
	v_addc_co_u32_e64 v1, s[0:1], 0, v5, s[0:1]
	s_orn2_b64 s[0:1], vcc, exec
.LBB2_5:
	s_or_b64 exec, exec, s[16:17]
	s_and_b64 exec, exec, s[0:1]
	s_cbranch_execz .LBB2_8
; %bb.6:
	s_add_u32 s6, s10, s14
	s_addc_u32 s10, s11, s15
	s_lshl_b64 s[0:1], s[12:13], 1
	s_add_u32 s7, s6, s0
	s_addc_u32 s11, s10, s1
	s_lshl_b64 s[0:1], s[4:5], 1
	s_add_u32 s4, s8, s0
	s_addc_u32 s0, s9, s1
	v_lshlrev_b64 v[2:3], 1, v[0:1]
	s_lshl_b32 s5, s18, 1
	s_mov_b64 s[2:3], 0
	v_mov_b32_e32 v4, s10
	v_mov_b32_e32 v5, s11
	s_movk_i32 s8, 0x7fff
	v_mov_b32_e32 v6, 0x7fc00000
	s_mov_b32 s9, 0x3fb8aa3b
	s_mov_b32 s10, 0xc2ce8ed0
	;; [unrolled: 1-line block ×3, first 2 shown]
	v_mov_b32_e32 v7, 0x7f800000
	v_mov_b32_e32 v8, 0x7fc0
	;; [unrolled: 1-line block ×3, first 2 shown]
.LBB2_7:                                ; =>This Inner Loop Header: Depth=1
	v_add_co_u32_e32 v10, vcc, s6, v2
	v_addc_co_u32_e32 v11, vcc, v4, v3, vcc
	global_load_ushort v12, v[10:11], off
	v_add_co_u32_e32 v10, vcc, s7, v2
	v_addc_co_u32_e32 v11, vcc, v5, v3, vcc
	global_load_ushort v13, v[10:11], off
	s_waitcnt vmcnt(1)
	v_lshlrev_b32_e32 v12, 16, v12
	v_xor_b32_e32 v10, 0x80000000, v12
	v_bfe_u32 v11, v10, 16, 1
	v_add3_u32 v10, v10, v11, s8
	v_and_b32_e32 v10, 0xffff0000, v10
	v_cmp_o_f32_e32 vcc, v12, v12
	v_cndmask_b32_e32 v10, v6, v10, vcc
	v_mul_f32_e32 v11, 0x3fb8aa3b, v10
	v_fma_f32 v14, v10, s9, -v11
	v_rndne_f32_e32 v15, v11
	v_fmac_f32_e32 v14, 0x32a5705f, v10
	v_sub_f32_e32 v11, v11, v15
	v_add_f32_e32 v11, v11, v14
	v_cvt_i32_f32_e32 v15, v15
	v_exp_f32_e32 v11, v11
	v_cmp_ngt_f32_e32 vcc, s10, v10
	s_waitcnt vmcnt(0)
	v_lshlrev_b32_e32 v13, 16, v13
	v_ldexp_f32 v11, v11, v15
	v_cndmask_b32_e32 v11, 0, v11, vcc
	v_cmp_nlt_f32_e32 vcc, s11, v10
	v_cndmask_b32_e32 v10, v7, v11, vcc
	v_add_f32_e32 v14, 1.0, v10
	v_div_scale_f32 v11, s[0:1], v14, v14, v12
	v_div_scale_f32 v15, vcc, v12, v14, v12
	v_add_co_u32_e64 v10, s[0:1], s4, v2
	v_rcp_f32_e32 v16, v11
	v_fma_f32 v17, -v11, v16, 1.0
	v_fmac_f32_e32 v16, v17, v16
	v_mul_f32_e32 v17, v15, v16
	v_fma_f32 v18, -v11, v17, v15
	v_fmac_f32_e32 v17, v18, v16
	v_fma_f32 v11, -v11, v17, v15
	v_div_fmas_f32 v15, v11, v16, v17
	v_addc_co_u32_e64 v11, vcc, v9, v3, s[0:1]
	v_add_co_u32_e32 v0, vcc, s18, v0
	v_addc_co_u32_e32 v1, vcc, 0, v1, vcc
	v_add_co_u32_e32 v2, vcc, s5, v2
	v_addc_co_u32_e32 v3, vcc, 0, v3, vcc
	v_cmp_le_i64_e32 vcc, s[12:13], v[0:1]
	s_or_b64 s[2:3], vcc, s[2:3]
	v_div_fixup_f32 v12, v15, v14, v12
	v_bfe_u32 v14, v12, 16, 1
	v_add3_u32 v14, v12, v14, s8
	v_and_b32_e32 v14, 0xffff0000, v14
	v_cmp_o_f32_e32 vcc, v12, v12
	v_cndmask_b32_e32 v12, v6, v14, vcc
	v_mul_f32_e32 v12, v12, v13
	v_bfe_u32 v13, v12, 16, 1
	v_add3_u32 v13, v12, v13, s8
	v_lshrrev_b32_e32 v13, 16, v13
	v_cmp_o_f32_e32 vcc, v12, v12
	v_cndmask_b32_e32 v12, v8, v13, vcc
	global_store_short v[10:11], v12, off
	s_andn2_b64 exec, exec, s[2:3]
	s_cbranch_execnz .LBB2_7
.LBB2_8:
	s_endpgm
	.section	.rodata,"a",@progbits
	.p2align	6, 0x0
	.amdhsa_kernel _ZN4vllm18act_and_mul_kernelIN3c108BFloat16ETnPFT_RKS3_EXadL_ZNS_11silu_kernelIS2_EES3_S5_EELb1EEEvPS3_PS4_i
		.amdhsa_group_segment_fixed_size 0
		.amdhsa_private_segment_fixed_size 0
		.amdhsa_kernarg_size 280
		.amdhsa_user_sgpr_count 6
		.amdhsa_user_sgpr_private_segment_buffer 1
		.amdhsa_user_sgpr_dispatch_ptr 0
		.amdhsa_user_sgpr_queue_ptr 0
		.amdhsa_user_sgpr_kernarg_segment_ptr 1
		.amdhsa_user_sgpr_dispatch_id 0
		.amdhsa_user_sgpr_flat_scratch_init 0
		.amdhsa_user_sgpr_private_segment_size 0
		.amdhsa_uses_dynamic_stack 0
		.amdhsa_system_sgpr_private_segment_wavefront_offset 0
		.amdhsa_system_sgpr_workgroup_id_x 1
		.amdhsa_system_sgpr_workgroup_id_y 0
		.amdhsa_system_sgpr_workgroup_id_z 0
		.amdhsa_system_sgpr_workgroup_info 0
		.amdhsa_system_vgpr_workitem_id 0
		.amdhsa_next_free_vgpr 27
		.amdhsa_next_free_sgpr 24
		.amdhsa_reserve_vcc 1
		.amdhsa_reserve_flat_scratch 0
		.amdhsa_float_round_mode_32 0
		.amdhsa_float_round_mode_16_64 0
		.amdhsa_float_denorm_mode_32 3
		.amdhsa_float_denorm_mode_16_64 3
		.amdhsa_dx10_clamp 1
		.amdhsa_ieee_mode 1
		.amdhsa_fp16_overflow 0
		.amdhsa_exception_fp_ieee_invalid_op 0
		.amdhsa_exception_fp_denorm_src 0
		.amdhsa_exception_fp_ieee_div_zero 0
		.amdhsa_exception_fp_ieee_overflow 0
		.amdhsa_exception_fp_ieee_underflow 0
		.amdhsa_exception_fp_ieee_inexact 0
		.amdhsa_exception_int_div_zero 0
	.end_amdhsa_kernel
	.section	.text._ZN4vllm18act_and_mul_kernelIN3c108BFloat16ETnPFT_RKS3_EXadL_ZNS_11silu_kernelIS2_EES3_S5_EELb1EEEvPS3_PS4_i,"axG",@progbits,_ZN4vllm18act_and_mul_kernelIN3c108BFloat16ETnPFT_RKS3_EXadL_ZNS_11silu_kernelIS2_EES3_S5_EELb1EEEvPS3_PS4_i,comdat
.Lfunc_end2:
	.size	_ZN4vllm18act_and_mul_kernelIN3c108BFloat16ETnPFT_RKS3_EXadL_ZNS_11silu_kernelIS2_EES3_S5_EELb1EEEvPS3_PS4_i, .Lfunc_end2-_ZN4vllm18act_and_mul_kernelIN3c108BFloat16ETnPFT_RKS3_EXadL_ZNS_11silu_kernelIS2_EES3_S5_EELb1EEEvPS3_PS4_i
                                        ; -- End function
	.set _ZN4vllm18act_and_mul_kernelIN3c108BFloat16ETnPFT_RKS3_EXadL_ZNS_11silu_kernelIS2_EES3_S5_EELb1EEEvPS3_PS4_i.num_vgpr, 27
	.set _ZN4vllm18act_and_mul_kernelIN3c108BFloat16ETnPFT_RKS3_EXadL_ZNS_11silu_kernelIS2_EES3_S5_EELb1EEEvPS3_PS4_i.num_agpr, 0
	.set _ZN4vllm18act_and_mul_kernelIN3c108BFloat16ETnPFT_RKS3_EXadL_ZNS_11silu_kernelIS2_EES3_S5_EELb1EEEvPS3_PS4_i.numbered_sgpr, 24
	.set _ZN4vllm18act_and_mul_kernelIN3c108BFloat16ETnPFT_RKS3_EXadL_ZNS_11silu_kernelIS2_EES3_S5_EELb1EEEvPS3_PS4_i.num_named_barrier, 0
	.set _ZN4vllm18act_and_mul_kernelIN3c108BFloat16ETnPFT_RKS3_EXadL_ZNS_11silu_kernelIS2_EES3_S5_EELb1EEEvPS3_PS4_i.private_seg_size, 0
	.set _ZN4vllm18act_and_mul_kernelIN3c108BFloat16ETnPFT_RKS3_EXadL_ZNS_11silu_kernelIS2_EES3_S5_EELb1EEEvPS3_PS4_i.uses_vcc, 1
	.set _ZN4vllm18act_and_mul_kernelIN3c108BFloat16ETnPFT_RKS3_EXadL_ZNS_11silu_kernelIS2_EES3_S5_EELb1EEEvPS3_PS4_i.uses_flat_scratch, 0
	.set _ZN4vllm18act_and_mul_kernelIN3c108BFloat16ETnPFT_RKS3_EXadL_ZNS_11silu_kernelIS2_EES3_S5_EELb1EEEvPS3_PS4_i.has_dyn_sized_stack, 0
	.set _ZN4vllm18act_and_mul_kernelIN3c108BFloat16ETnPFT_RKS3_EXadL_ZNS_11silu_kernelIS2_EES3_S5_EELb1EEEvPS3_PS4_i.has_recursion, 0
	.set _ZN4vllm18act_and_mul_kernelIN3c108BFloat16ETnPFT_RKS3_EXadL_ZNS_11silu_kernelIS2_EES3_S5_EELb1EEEvPS3_PS4_i.has_indirect_call, 0
	.section	.AMDGPU.csdata,"",@progbits
; Kernel info:
; codeLenInByte = 1504
; TotalNumSgprs: 28
; NumVgprs: 27
; ScratchSize: 0
; MemoryBound: 0
; FloatMode: 240
; IeeeMode: 1
; LDSByteSize: 0 bytes/workgroup (compile time only)
; SGPRBlocks: 3
; VGPRBlocks: 6
; NumSGPRsForWavesPerEU: 28
; NumVGPRsForWavesPerEU: 27
; Occupancy: 9
; WaveLimiterHint : 0
; COMPUTE_PGM_RSRC2:SCRATCH_EN: 0
; COMPUTE_PGM_RSRC2:USER_SGPR: 6
; COMPUTE_PGM_RSRC2:TRAP_HANDLER: 0
; COMPUTE_PGM_RSRC2:TGID_X_EN: 1
; COMPUTE_PGM_RSRC2:TGID_Y_EN: 0
; COMPUTE_PGM_RSRC2:TGID_Z_EN: 0
; COMPUTE_PGM_RSRC2:TIDIG_COMP_CNT: 0
	.section	.text._ZN4vllm18act_and_mul_kernelIfTnPFT_RKS1_EXadL_ZNS_11silu_kernelIfEES1_S3_EELb0EEEvPS1_PS2_i,"axG",@progbits,_ZN4vllm18act_and_mul_kernelIfTnPFT_RKS1_EXadL_ZNS_11silu_kernelIfEES1_S3_EELb0EEEvPS1_PS2_i,comdat
	.protected	_ZN4vllm18act_and_mul_kernelIfTnPFT_RKS1_EXadL_ZNS_11silu_kernelIfEES1_S3_EELb0EEEvPS1_PS2_i ; -- Begin function _ZN4vllm18act_and_mul_kernelIfTnPFT_RKS1_EXadL_ZNS_11silu_kernelIfEES1_S3_EELb0EEEvPS1_PS2_i
	.globl	_ZN4vllm18act_and_mul_kernelIfTnPFT_RKS1_EXadL_ZNS_11silu_kernelIfEES1_S3_EELb0EEEvPS1_PS2_i
	.p2align	8
	.type	_ZN4vllm18act_and_mul_kernelIfTnPFT_RKS1_EXadL_ZNS_11silu_kernelIfEES1_S3_EELb0EEEvPS1_PS2_i,@function
_ZN4vllm18act_and_mul_kernelIfTnPFT_RKS1_EXadL_ZNS_11silu_kernelIfEES1_S3_EELb0EEEvPS1_PS2_i: ; @_ZN4vllm18act_and_mul_kernelIfTnPFT_RKS1_EXadL_ZNS_11silu_kernelIfEES1_S3_EELb0EEEvPS1_PS2_i
; %bb.0:
	s_load_dword s0, s[4:5], 0x10
	s_waitcnt lgkmcnt(0)
	v_cmp_gt_i32_e32 vcc, s0, v0
	s_and_saveexec_b64 s[2:3], vcc
	s_cbranch_execz .LBB3_3
; %bb.1:
	s_load_dwordx4 s[8:11], s[4:5], 0x0
	s_load_dword s12, s[4:5], 0x24
	s_ashr_i32 s1, s0, 31
	s_mul_hi_u32 s2, s6, s0
	s_mul_i32 s3, s6, s1
	s_add_i32 s3, s2, s3
	s_mul_i32 s2, s6, s0
	s_lshl_b64 s[6:7], s[2:3], 3
	s_waitcnt lgkmcnt(0)
	s_add_u32 s4, s10, s6
	s_addc_u32 s10, s11, s7
	s_lshl_b64 s[6:7], s[0:1], 2
	s_add_u32 s5, s4, s6
	s_addc_u32 s11, s10, s7
	s_lshl_b64 s[2:3], s[2:3], 2
	s_add_u32 s6, s8, s2
	v_mov_b32_e32 v1, 0
	s_addc_u32 s13, s9, s3
	s_and_b32 s7, s12, 0xffff
	v_lshlrev_b32_e32 v2, 2, v0
	v_mov_b32_e32 v3, v1
	s_lshl_b32 s8, s7, 2
	s_mov_b64 s[2:3], 0
	v_mov_b32_e32 v4, s10
	v_mov_b32_e32 v5, s11
	s_mov_b32 s9, 0xbfb8aa3b
	s_mov_b32 s10, 0x42ce8ed0
	;; [unrolled: 1-line block ×3, first 2 shown]
	v_mov_b32_e32 v6, 0x7f800000
	v_mov_b32_e32 v7, s13
.LBB3_2:                                ; =>This Inner Loop Header: Depth=1
	v_add_co_u32_e32 v8, vcc, s4, v2
	v_addc_co_u32_e32 v9, vcc, v4, v3, vcc
	v_add_co_u32_e32 v10, vcc, s5, v2
	v_addc_co_u32_e32 v11, vcc, v5, v3, vcc
	global_load_dword v12, v[10:11], off
	global_load_dword v13, v[8:9], off
	s_waitcnt vmcnt(1)
	v_mul_f32_e32 v8, 0xbfb8aa3b, v12
	v_fma_f32 v9, v12, s9, -v8
	v_rndne_f32_e32 v10, v8
	v_fmac_f32_e32 v9, 0xb2a5705f, v12
	v_sub_f32_e32 v8, v8, v10
	v_add_f32_e32 v8, v8, v9
	v_cvt_i32_f32_e32 v10, v10
	v_exp_f32_e32 v8, v8
	v_cmp_nlt_f32_e32 vcc, s10, v12
	v_ldexp_f32 v8, v8, v10
	v_cndmask_b32_e32 v8, 0, v8, vcc
	v_cmp_ngt_f32_e32 vcc, s11, v12
	v_cndmask_b32_e32 v8, v6, v8, vcc
	v_add_f32_e32 v10, 1.0, v8
	v_div_scale_f32 v8, s[12:13], v10, v10, v12
	v_div_scale_f32 v9, vcc, v12, v10, v12
	v_rcp_f32_e32 v11, v8
	v_fma_f32 v14, -v8, v11, 1.0
	v_fmac_f32_e32 v11, v14, v11
	v_mul_f32_e32 v14, v9, v11
	v_fma_f32 v15, -v8, v14, v9
	v_fmac_f32_e32 v14, v15, v11
	v_fma_f32 v8, -v8, v14, v9
	v_div_fmas_f32 v11, v8, v11, v14
	v_add_co_u32_e32 v8, vcc, s6, v2
	v_addc_co_u32_e32 v9, vcc, v7, v3, vcc
	v_add_co_u32_e32 v0, vcc, s7, v0
	v_addc_co_u32_e32 v1, vcc, 0, v1, vcc
	;; [unrolled: 2-line block ×3, first 2 shown]
	v_cmp_le_i64_e32 vcc, s[0:1], v[0:1]
	s_or_b64 s[2:3], vcc, s[2:3]
	v_div_fixup_f32 v10, v11, v10, v12
	s_waitcnt vmcnt(0)
	v_mul_f32_e32 v10, v13, v10
	global_store_dword v[8:9], v10, off
	s_andn2_b64 exec, exec, s[2:3]
	s_cbranch_execnz .LBB3_2
.LBB3_3:
	s_endpgm
	.section	.rodata,"a",@progbits
	.p2align	6, 0x0
	.amdhsa_kernel _ZN4vllm18act_and_mul_kernelIfTnPFT_RKS1_EXadL_ZNS_11silu_kernelIfEES1_S3_EELb0EEEvPS1_PS2_i
		.amdhsa_group_segment_fixed_size 0
		.amdhsa_private_segment_fixed_size 0
		.amdhsa_kernarg_size 280
		.amdhsa_user_sgpr_count 6
		.amdhsa_user_sgpr_private_segment_buffer 1
		.amdhsa_user_sgpr_dispatch_ptr 0
		.amdhsa_user_sgpr_queue_ptr 0
		.amdhsa_user_sgpr_kernarg_segment_ptr 1
		.amdhsa_user_sgpr_dispatch_id 0
		.amdhsa_user_sgpr_flat_scratch_init 0
		.amdhsa_user_sgpr_private_segment_size 0
		.amdhsa_uses_dynamic_stack 0
		.amdhsa_system_sgpr_private_segment_wavefront_offset 0
		.amdhsa_system_sgpr_workgroup_id_x 1
		.amdhsa_system_sgpr_workgroup_id_y 0
		.amdhsa_system_sgpr_workgroup_id_z 0
		.amdhsa_system_sgpr_workgroup_info 0
		.amdhsa_system_vgpr_workitem_id 0
		.amdhsa_next_free_vgpr 16
		.amdhsa_next_free_sgpr 14
		.amdhsa_reserve_vcc 1
		.amdhsa_reserve_flat_scratch 0
		.amdhsa_float_round_mode_32 0
		.amdhsa_float_round_mode_16_64 0
		.amdhsa_float_denorm_mode_32 3
		.amdhsa_float_denorm_mode_16_64 3
		.amdhsa_dx10_clamp 1
		.amdhsa_ieee_mode 1
		.amdhsa_fp16_overflow 0
		.amdhsa_exception_fp_ieee_invalid_op 0
		.amdhsa_exception_fp_denorm_src 0
		.amdhsa_exception_fp_ieee_div_zero 0
		.amdhsa_exception_fp_ieee_overflow 0
		.amdhsa_exception_fp_ieee_underflow 0
		.amdhsa_exception_fp_ieee_inexact 0
		.amdhsa_exception_int_div_zero 0
	.end_amdhsa_kernel
	.section	.text._ZN4vllm18act_and_mul_kernelIfTnPFT_RKS1_EXadL_ZNS_11silu_kernelIfEES1_S3_EELb0EEEvPS1_PS2_i,"axG",@progbits,_ZN4vllm18act_and_mul_kernelIfTnPFT_RKS1_EXadL_ZNS_11silu_kernelIfEES1_S3_EELb0EEEvPS1_PS2_i,comdat
.Lfunc_end3:
	.size	_ZN4vllm18act_and_mul_kernelIfTnPFT_RKS1_EXadL_ZNS_11silu_kernelIfEES1_S3_EELb0EEEvPS1_PS2_i, .Lfunc_end3-_ZN4vllm18act_and_mul_kernelIfTnPFT_RKS1_EXadL_ZNS_11silu_kernelIfEES1_S3_EELb0EEEvPS1_PS2_i
                                        ; -- End function
	.set _ZN4vllm18act_and_mul_kernelIfTnPFT_RKS1_EXadL_ZNS_11silu_kernelIfEES1_S3_EELb0EEEvPS1_PS2_i.num_vgpr, 16
	.set _ZN4vllm18act_and_mul_kernelIfTnPFT_RKS1_EXadL_ZNS_11silu_kernelIfEES1_S3_EELb0EEEvPS1_PS2_i.num_agpr, 0
	.set _ZN4vllm18act_and_mul_kernelIfTnPFT_RKS1_EXadL_ZNS_11silu_kernelIfEES1_S3_EELb0EEEvPS1_PS2_i.numbered_sgpr, 14
	.set _ZN4vllm18act_and_mul_kernelIfTnPFT_RKS1_EXadL_ZNS_11silu_kernelIfEES1_S3_EELb0EEEvPS1_PS2_i.num_named_barrier, 0
	.set _ZN4vllm18act_and_mul_kernelIfTnPFT_RKS1_EXadL_ZNS_11silu_kernelIfEES1_S3_EELb0EEEvPS1_PS2_i.private_seg_size, 0
	.set _ZN4vllm18act_and_mul_kernelIfTnPFT_RKS1_EXadL_ZNS_11silu_kernelIfEES1_S3_EELb0EEEvPS1_PS2_i.uses_vcc, 1
	.set _ZN4vllm18act_and_mul_kernelIfTnPFT_RKS1_EXadL_ZNS_11silu_kernelIfEES1_S3_EELb0EEEvPS1_PS2_i.uses_flat_scratch, 0
	.set _ZN4vllm18act_and_mul_kernelIfTnPFT_RKS1_EXadL_ZNS_11silu_kernelIfEES1_S3_EELb0EEEvPS1_PS2_i.has_dyn_sized_stack, 0
	.set _ZN4vllm18act_and_mul_kernelIfTnPFT_RKS1_EXadL_ZNS_11silu_kernelIfEES1_S3_EELb0EEEvPS1_PS2_i.has_recursion, 0
	.set _ZN4vllm18act_and_mul_kernelIfTnPFT_RKS1_EXadL_ZNS_11silu_kernelIfEES1_S3_EELb0EEEvPS1_PS2_i.has_indirect_call, 0
	.section	.AMDGPU.csdata,"",@progbits
; Kernel info:
; codeLenInByte = 412
; TotalNumSgprs: 18
; NumVgprs: 16
; ScratchSize: 0
; MemoryBound: 0
; FloatMode: 240
; IeeeMode: 1
; LDSByteSize: 0 bytes/workgroup (compile time only)
; SGPRBlocks: 2
; VGPRBlocks: 3
; NumSGPRsForWavesPerEU: 18
; NumVGPRsForWavesPerEU: 16
; Occupancy: 10
; WaveLimiterHint : 0
; COMPUTE_PGM_RSRC2:SCRATCH_EN: 0
; COMPUTE_PGM_RSRC2:USER_SGPR: 6
; COMPUTE_PGM_RSRC2:TRAP_HANDLER: 0
; COMPUTE_PGM_RSRC2:TGID_X_EN: 1
; COMPUTE_PGM_RSRC2:TGID_Y_EN: 0
; COMPUTE_PGM_RSRC2:TGID_Z_EN: 0
; COMPUTE_PGM_RSRC2:TIDIG_COMP_CNT: 0
	.section	.text._ZN4vllm18act_and_mul_kernelIN3c104HalfETnPFT_RKS3_EXadL_ZNS_11silu_kernelIS2_EES3_S5_EELb0EEEvPS3_PS4_i,"axG",@progbits,_ZN4vllm18act_and_mul_kernelIN3c104HalfETnPFT_RKS3_EXadL_ZNS_11silu_kernelIS2_EES3_S5_EELb0EEEvPS3_PS4_i,comdat
	.protected	_ZN4vllm18act_and_mul_kernelIN3c104HalfETnPFT_RKS3_EXadL_ZNS_11silu_kernelIS2_EES3_S5_EELb0EEEvPS3_PS4_i ; -- Begin function _ZN4vllm18act_and_mul_kernelIN3c104HalfETnPFT_RKS3_EXadL_ZNS_11silu_kernelIS2_EES3_S5_EELb0EEEvPS3_PS4_i
	.globl	_ZN4vllm18act_and_mul_kernelIN3c104HalfETnPFT_RKS3_EXadL_ZNS_11silu_kernelIS2_EES3_S5_EELb0EEEvPS3_PS4_i
	.p2align	8
	.type	_ZN4vllm18act_and_mul_kernelIN3c104HalfETnPFT_RKS3_EXadL_ZNS_11silu_kernelIS2_EES3_S5_EELb0EEEvPS3_PS4_i,@function
_ZN4vllm18act_and_mul_kernelIN3c104HalfETnPFT_RKS3_EXadL_ZNS_11silu_kernelIS2_EES3_S5_EELb0EEEvPS3_PS4_i: ; @_ZN4vllm18act_and_mul_kernelIN3c104HalfETnPFT_RKS3_EXadL_ZNS_11silu_kernelIS2_EES3_S5_EELb0EEEvPS3_PS4_i
; %bb.0:
	s_load_dword s2, s[4:5], 0x10
	s_waitcnt lgkmcnt(0)
	v_cmp_gt_i32_e32 vcc, s2, v0
	s_and_saveexec_b64 s[0:1], vcc
	s_cbranch_execz .LBB4_8
; %bb.1:
	v_mov_b32_e32 v1, 0
	s_ashr_i32 s3, s2, 31
	v_add_u32_e32 v2, 1, v0
	v_mov_b32_e32 v3, v1
	s_load_dwordx4 s[8:11], s[4:5], 0x0
	s_load_dword s1, s[4:5], 0x24
	v_cmp_lt_i64_e32 vcc, s[2:3], v[2:3]
	v_mov_b32_e32 v4, s3
	v_cndmask_b32_e64 v3, v4, 0, vcc
	v_mov_b32_e32 v4, s2
	s_mul_hi_u32 s0, s6, s2
	s_mul_i32 s4, s6, s3
	v_cndmask_b32_e32 v2, v4, v2, vcc
	s_add_i32 s5, s0, s4
	s_mul_i32 s4, s6, s2
	v_sub_co_u32_e32 v2, vcc, v2, v0
	s_lshl_b64 s[12:13], s[4:5], 2
	s_waitcnt lgkmcnt(0)
	s_and_b32 s16, s1, 0xffff
	v_subbrev_co_u32_e32 v3, vcc, 0, v3, vcc
	v_cmp_lt_u64_e32 vcc, 1, v[2:3]
	s_cmp_eq_u32 s16, 1
	s_cselect_b64 s[0:1], -1, 0
	s_and_b64 s[18:19], vcc, s[0:1]
	s_mov_b64 s[0:1], -1
	s_and_saveexec_b64 s[14:15], s[18:19]
	s_cbranch_execz .LBB4_5
; %bb.2:
	s_lshl_b64 s[0:1], s[4:5], 1
	v_lshlrev_b64 v[10:11], 1, v[0:1]
	s_add_u32 s0, s8, s0
	s_mov_b32 s7, 0
	s_addc_u32 s1, s9, s1
	v_mov_b32_e32 v1, s1
	v_add_co_u32_e32 v6, vcc, s0, v10
	s_lshl_b64 s[0:1], s[6:7], 2
	s_or_b32 s0, s0, 2
	s_mul_i32 s6, s0, s3
	s_mul_hi_u32 s7, s0, s2
	s_add_i32 s6, s7, s6
	s_mul_i32 s1, s1, s2
	s_add_i32 s6, s6, s1
	s_mul_i32 s0, s0, s2
	s_add_u32 s0, s10, s0
	v_addc_co_u32_e32 v7, vcc, v1, v11, vcc
	s_addc_u32 s1, s11, s6
	v_mov_b32_e32 v1, s1
	v_add_co_u32_e32 v8, vcc, s0, v10
	s_add_u32 s0, s10, s12
	v_mov_b32_e32 v5, v3
	v_addc_co_u32_e32 v9, vcc, v1, v11, vcc
	s_addc_u32 s1, s11, s13
	v_and_b32_e32 v4, -2, v2
	v_mov_b32_e32 v1, s1
	v_add_co_u32_e32 v10, vcc, s0, v10
	v_mov_b32_e32 v13, v5
	v_addc_co_u32_e32 v11, vcc, v1, v11, vcc
	s_mov_b64 s[0:1], 0
	s_mov_b32 s6, 0x3fb8aa3b
	s_mov_b32 s7, 0x32a5705f
	s_mov_b32 s17, 0xc2ce8ed0
	s_mov_b32 s18, 0x42b17218
	v_mov_b32_e32 v1, 0x7f800000
	v_mov_b32_e32 v12, v4
.LBB4_3:                                ; =>This Inner Loop Header: Depth=1
	global_load_dword v14, v[10:11], off
	global_load_dword v15, v[8:9], off
	s_waitcnt vmcnt(0)
	v_cvt_f32_f16_sdwa v18, -v15 dst_sel:DWORD dst_unused:UNUSED_PAD src0_sel:WORD_1
	v_cvt_f32_f16_e64 v19, -v15
	v_cvt_f32_f16_sdwa v16, v15 dst_sel:DWORD dst_unused:UNUSED_PAD src0_sel:WORD_1
	v_cvt_f32_f16_e32 v17, v15
	v_mul_f32_e32 v20, 0x3fb8aa3b, v18
	v_rndne_f32_e32 v21, v20
	v_sub_f32_e32 v22, v20, v21
	v_fma_mix_f32 v20, -v15, s6, -v20 op_sel:[1,0,0] op_sel_hi:[1,0,0]
	v_fma_mix_f32 v20, -v15, s7, v20 op_sel:[1,0,0] op_sel_hi:[1,0,0]
	v_add_f32_e32 v20, v22, v20
	v_exp_f32_e32 v20, v20
	v_cvt_i32_f32_e32 v21, v21
	v_cmp_ngt_f32_e32 vcc, s17, v18
	v_ldexp_f32 v20, v20, v21
	v_cndmask_b32_e32 v20, 0, v20, vcc
	v_cmp_nlt_f32_e32 vcc, s18, v18
	v_cndmask_b32_e32 v18, v1, v20, vcc
	v_mul_f32_e32 v20, 0x3fb8aa3b, v19
	v_rndne_f32_e32 v21, v20
	v_sub_f32_e32 v22, v20, v21
	v_fma_mix_f32 v20, -v15, s6, -v20 op_sel_hi:[1,0,0]
	v_fma_mix_f32 v15, -v15, s7, v20 op_sel_hi:[1,0,0]
	v_add_f32_e32 v15, v22, v15
	v_exp_f32_e32 v15, v15
	v_cvt_i32_f32_e32 v20, v21
	v_cmp_ngt_f32_e32 vcc, s17, v19
	v_add_f32_e32 v18, 1.0, v18
	v_ldexp_f32 v15, v15, v20
	v_cndmask_b32_e32 v15, 0, v15, vcc
	v_cmp_nlt_f32_e32 vcc, s18, v19
	v_div_scale_f32 v19, s[20:21], v18, v18, v16
	v_cndmask_b32_e32 v15, v1, v15, vcc
	v_add_f32_e32 v15, 1.0, v15
	v_rcp_f32_e32 v20, v19
	v_fma_f32 v21, -v19, v20, 1.0
	v_fmac_f32_e32 v20, v21, v20
	v_div_scale_f32 v21, vcc, v16, v18, v16
	v_mul_f32_e32 v22, v21, v20
	v_fma_f32 v23, -v19, v22, v21
	v_fmac_f32_e32 v22, v23, v20
	v_fma_f32 v19, -v19, v22, v21
	v_div_fmas_f32 v19, v19, v20, v22
	v_div_fixup_f32 v16, v19, v18, v16
	v_div_scale_f32 v18, s[20:21], v15, v15, v17
	v_cvt_f16_f32_e32 v16, v16
	v_rcp_f32_e32 v19, v18
	v_fma_f32 v20, -v18, v19, 1.0
	v_fmac_f32_e32 v19, v20, v19
	v_div_scale_f32 v20, vcc, v17, v15, v17
	v_mul_f32_e32 v21, v20, v19
	v_fma_f32 v22, -v18, v21, v20
	v_fmac_f32_e32 v21, v22, v19
	v_fma_f32 v18, -v18, v21, v20
	v_div_fmas_f32 v18, v18, v19, v21
	v_add_co_u32_e32 v12, vcc, -2, v12
	v_addc_co_u32_e32 v13, vcc, -1, v13, vcc
	v_div_fixup_f32 v15, v18, v15, v17
	v_cvt_f16_f32_e32 v15, v15
	v_pack_b32_f16 v15, v15, v16
	v_pk_mul_f16 v14, v14, v15
	global_store_dword v[6:7], v14, off
	v_add_co_u32_e32 v6, vcc, 4, v6
	v_addc_co_u32_e32 v7, vcc, 0, v7, vcc
	v_add_co_u32_e32 v8, vcc, 4, v8
	v_addc_co_u32_e32 v9, vcc, 0, v9, vcc
	;; [unrolled: 2-line block ×3, first 2 shown]
	v_cmp_eq_u64_e32 vcc, 0, v[12:13]
	s_or_b64 s[0:1], vcc, s[0:1]
	s_andn2_b64 exec, exec, s[0:1]
	s_cbranch_execnz .LBB4_3
; %bb.4:
	s_or_b64 exec, exec, s[0:1]
	v_cmp_ne_u64_e32 vcc, v[2:3], v[4:5]
	v_add_co_u32_e64 v0, s[0:1], v4, v0
	v_addc_co_u32_e64 v1, s[0:1], 0, v5, s[0:1]
	s_orn2_b64 s[0:1], vcc, exec
.LBB4_5:
	s_or_b64 exec, exec, s[14:15]
	s_and_b64 exec, exec, s[0:1]
	s_cbranch_execz .LBB4_8
; %bb.6:
	s_add_u32 s6, s10, s12
	s_addc_u32 s10, s11, s13
	s_lshl_b64 s[0:1], s[2:3], 1
	s_add_u32 s7, s6, s0
	s_addc_u32 s11, s10, s1
	s_lshl_b64 s[0:1], s[4:5], 1
	s_add_u32 s4, s8, s0
	s_addc_u32 s12, s9, s1
	v_lshlrev_b64 v[2:3], 1, v[0:1]
	s_lshl_b32 s5, s16, 1
	s_mov_b64 s[0:1], 0
	v_mov_b32_e32 v4, s10
	v_mov_b32_e32 v5, s11
	s_mov_b32 s8, 0x3fb8aa3b
	s_mov_b32 s9, 0x32a5705f
	;; [unrolled: 1-line block ×4, first 2 shown]
	v_mov_b32_e32 v6, 0x7f800000
	v_mov_b32_e32 v7, s12
.LBB4_7:                                ; =>This Inner Loop Header: Depth=1
	v_add_co_u32_e32 v8, vcc, s6, v2
	v_addc_co_u32_e32 v9, vcc, v4, v3, vcc
	v_add_co_u32_e32 v10, vcc, s7, v2
	v_addc_co_u32_e32 v11, vcc, v5, v3, vcc
	global_load_ushort v12, v[10:11], off
	global_load_ushort v13, v[8:9], off
	s_waitcnt vmcnt(1)
	v_cvt_f32_f16_e64 v8, -v12
	v_cvt_f32_f16_e32 v10, v12
	v_mul_f32_e32 v9, 0x3fb8aa3b, v8
	v_fma_mix_f32 v11, -v12, s8, -v9 op_sel_hi:[1,0,0]
	v_rndne_f32_e32 v14, v9
	v_fma_mix_f32 v11, -v12, s9, v11 op_sel_hi:[1,0,0]
	v_sub_f32_e32 v9, v9, v14
	v_add_f32_e32 v9, v9, v11
	v_cvt_i32_f32_e32 v12, v14
	v_exp_f32_e32 v9, v9
	v_cmp_ngt_f32_e32 vcc, s10, v8
	v_ldexp_f32 v9, v9, v12
	v_cndmask_b32_e32 v9, 0, v9, vcc
	v_cmp_nlt_f32_e32 vcc, s11, v8
	v_cndmask_b32_e32 v8, v6, v9, vcc
	v_add_f32_e32 v11, 1.0, v8
	v_div_scale_f32 v8, s[12:13], v11, v11, v10
	v_div_scale_f32 v9, vcc, v10, v11, v10
	v_rcp_f32_e32 v12, v8
	v_fma_f32 v14, -v8, v12, 1.0
	v_fmac_f32_e32 v12, v14, v12
	v_mul_f32_e32 v14, v9, v12
	v_fma_f32 v15, -v8, v14, v9
	v_fmac_f32_e32 v14, v15, v12
	v_fma_f32 v8, -v8, v14, v9
	v_div_fmas_f32 v12, v8, v12, v14
	v_add_co_u32_e32 v8, vcc, s4, v2
	v_addc_co_u32_e32 v9, vcc, v7, v3, vcc
	v_add_co_u32_e32 v0, vcc, s16, v0
	v_addc_co_u32_e32 v1, vcc, 0, v1, vcc
	;; [unrolled: 2-line block ×3, first 2 shown]
	v_cmp_le_i64_e32 vcc, s[2:3], v[0:1]
	s_or_b64 s[0:1], vcc, s[0:1]
	v_div_fixup_f32 v10, v12, v11, v10
	v_cvt_f16_f32_e32 v10, v10
	s_waitcnt vmcnt(0)
	v_mul_f16_e32 v10, v13, v10
	global_store_short v[8:9], v10, off
	s_andn2_b64 exec, exec, s[0:1]
	s_cbranch_execnz .LBB4_7
.LBB4_8:
	s_endpgm
	.section	.rodata,"a",@progbits
	.p2align	6, 0x0
	.amdhsa_kernel _ZN4vllm18act_and_mul_kernelIN3c104HalfETnPFT_RKS3_EXadL_ZNS_11silu_kernelIS2_EES3_S5_EELb0EEEvPS3_PS4_i
		.amdhsa_group_segment_fixed_size 0
		.amdhsa_private_segment_fixed_size 0
		.amdhsa_kernarg_size 280
		.amdhsa_user_sgpr_count 6
		.amdhsa_user_sgpr_private_segment_buffer 1
		.amdhsa_user_sgpr_dispatch_ptr 0
		.amdhsa_user_sgpr_queue_ptr 0
		.amdhsa_user_sgpr_kernarg_segment_ptr 1
		.amdhsa_user_sgpr_dispatch_id 0
		.amdhsa_user_sgpr_flat_scratch_init 0
		.amdhsa_user_sgpr_private_segment_size 0
		.amdhsa_uses_dynamic_stack 0
		.amdhsa_system_sgpr_private_segment_wavefront_offset 0
		.amdhsa_system_sgpr_workgroup_id_x 1
		.amdhsa_system_sgpr_workgroup_id_y 0
		.amdhsa_system_sgpr_workgroup_id_z 0
		.amdhsa_system_sgpr_workgroup_info 0
		.amdhsa_system_vgpr_workitem_id 0
		.amdhsa_next_free_vgpr 24
		.amdhsa_next_free_sgpr 22
		.amdhsa_reserve_vcc 1
		.amdhsa_reserve_flat_scratch 0
		.amdhsa_float_round_mode_32 0
		.amdhsa_float_round_mode_16_64 0
		.amdhsa_float_denorm_mode_32 3
		.amdhsa_float_denorm_mode_16_64 3
		.amdhsa_dx10_clamp 1
		.amdhsa_ieee_mode 1
		.amdhsa_fp16_overflow 0
		.amdhsa_exception_fp_ieee_invalid_op 0
		.amdhsa_exception_fp_denorm_src 0
		.amdhsa_exception_fp_ieee_div_zero 0
		.amdhsa_exception_fp_ieee_overflow 0
		.amdhsa_exception_fp_ieee_underflow 0
		.amdhsa_exception_fp_ieee_inexact 0
		.amdhsa_exception_int_div_zero 0
	.end_amdhsa_kernel
	.section	.text._ZN4vllm18act_and_mul_kernelIN3c104HalfETnPFT_RKS3_EXadL_ZNS_11silu_kernelIS2_EES3_S5_EELb0EEEvPS3_PS4_i,"axG",@progbits,_ZN4vllm18act_and_mul_kernelIN3c104HalfETnPFT_RKS3_EXadL_ZNS_11silu_kernelIS2_EES3_S5_EELb0EEEvPS3_PS4_i,comdat
.Lfunc_end4:
	.size	_ZN4vllm18act_and_mul_kernelIN3c104HalfETnPFT_RKS3_EXadL_ZNS_11silu_kernelIS2_EES3_S5_EELb0EEEvPS3_PS4_i, .Lfunc_end4-_ZN4vllm18act_and_mul_kernelIN3c104HalfETnPFT_RKS3_EXadL_ZNS_11silu_kernelIS2_EES3_S5_EELb0EEEvPS3_PS4_i
                                        ; -- End function
	.set _ZN4vllm18act_and_mul_kernelIN3c104HalfETnPFT_RKS3_EXadL_ZNS_11silu_kernelIS2_EES3_S5_EELb0EEEvPS3_PS4_i.num_vgpr, 24
	.set _ZN4vllm18act_and_mul_kernelIN3c104HalfETnPFT_RKS3_EXadL_ZNS_11silu_kernelIS2_EES3_S5_EELb0EEEvPS3_PS4_i.num_agpr, 0
	.set _ZN4vllm18act_and_mul_kernelIN3c104HalfETnPFT_RKS3_EXadL_ZNS_11silu_kernelIS2_EES3_S5_EELb0EEEvPS3_PS4_i.numbered_sgpr, 22
	.set _ZN4vllm18act_and_mul_kernelIN3c104HalfETnPFT_RKS3_EXadL_ZNS_11silu_kernelIS2_EES3_S5_EELb0EEEvPS3_PS4_i.num_named_barrier, 0
	.set _ZN4vllm18act_and_mul_kernelIN3c104HalfETnPFT_RKS3_EXadL_ZNS_11silu_kernelIS2_EES3_S5_EELb0EEEvPS3_PS4_i.private_seg_size, 0
	.set _ZN4vllm18act_and_mul_kernelIN3c104HalfETnPFT_RKS3_EXadL_ZNS_11silu_kernelIS2_EES3_S5_EELb0EEEvPS3_PS4_i.uses_vcc, 1
	.set _ZN4vllm18act_and_mul_kernelIN3c104HalfETnPFT_RKS3_EXadL_ZNS_11silu_kernelIS2_EES3_S5_EELb0EEEvPS3_PS4_i.uses_flat_scratch, 0
	.set _ZN4vllm18act_and_mul_kernelIN3c104HalfETnPFT_RKS3_EXadL_ZNS_11silu_kernelIS2_EES3_S5_EELb0EEEvPS3_PS4_i.has_dyn_sized_stack, 0
	.set _ZN4vllm18act_and_mul_kernelIN3c104HalfETnPFT_RKS3_EXadL_ZNS_11silu_kernelIS2_EES3_S5_EELb0EEEvPS3_PS4_i.has_recursion, 0
	.set _ZN4vllm18act_and_mul_kernelIN3c104HalfETnPFT_RKS3_EXadL_ZNS_11silu_kernelIS2_EES3_S5_EELb0EEEvPS3_PS4_i.has_indirect_call, 0
	.section	.AMDGPU.csdata,"",@progbits
; Kernel info:
; codeLenInByte = 1128
; TotalNumSgprs: 26
; NumVgprs: 24
; ScratchSize: 0
; MemoryBound: 0
; FloatMode: 240
; IeeeMode: 1
; LDSByteSize: 0 bytes/workgroup (compile time only)
; SGPRBlocks: 3
; VGPRBlocks: 5
; NumSGPRsForWavesPerEU: 26
; NumVGPRsForWavesPerEU: 24
; Occupancy: 10
; WaveLimiterHint : 0
; COMPUTE_PGM_RSRC2:SCRATCH_EN: 0
; COMPUTE_PGM_RSRC2:USER_SGPR: 6
; COMPUTE_PGM_RSRC2:TRAP_HANDLER: 0
; COMPUTE_PGM_RSRC2:TGID_X_EN: 1
; COMPUTE_PGM_RSRC2:TGID_Y_EN: 0
; COMPUTE_PGM_RSRC2:TGID_Z_EN: 0
; COMPUTE_PGM_RSRC2:TIDIG_COMP_CNT: 0
	.section	.text._ZN4vllm18act_and_mul_kernelIN3c108BFloat16ETnPFT_RKS3_EXadL_ZNS_11silu_kernelIS2_EES3_S5_EELb0EEEvPS3_PS4_i,"axG",@progbits,_ZN4vllm18act_and_mul_kernelIN3c108BFloat16ETnPFT_RKS3_EXadL_ZNS_11silu_kernelIS2_EES3_S5_EELb0EEEvPS3_PS4_i,comdat
	.protected	_ZN4vllm18act_and_mul_kernelIN3c108BFloat16ETnPFT_RKS3_EXadL_ZNS_11silu_kernelIS2_EES3_S5_EELb0EEEvPS3_PS4_i ; -- Begin function _ZN4vllm18act_and_mul_kernelIN3c108BFloat16ETnPFT_RKS3_EXadL_ZNS_11silu_kernelIS2_EES3_S5_EELb0EEEvPS3_PS4_i
	.globl	_ZN4vllm18act_and_mul_kernelIN3c108BFloat16ETnPFT_RKS3_EXadL_ZNS_11silu_kernelIS2_EES3_S5_EELb0EEEvPS3_PS4_i
	.p2align	8
	.type	_ZN4vllm18act_and_mul_kernelIN3c108BFloat16ETnPFT_RKS3_EXadL_ZNS_11silu_kernelIS2_EES3_S5_EELb0EEEvPS3_PS4_i,@function
_ZN4vllm18act_and_mul_kernelIN3c108BFloat16ETnPFT_RKS3_EXadL_ZNS_11silu_kernelIS2_EES3_S5_EELb0EEEvPS3_PS4_i: ; @_ZN4vllm18act_and_mul_kernelIN3c108BFloat16ETnPFT_RKS3_EXadL_ZNS_11silu_kernelIS2_EES3_S5_EELb0EEEvPS3_PS4_i
; %bb.0:
	s_load_dword s12, s[4:5], 0x10
	s_waitcnt lgkmcnt(0)
	v_cmp_gt_i32_e32 vcc, s12, v0
	s_and_saveexec_b64 s[0:1], vcc
	s_cbranch_execz .LBB5_8
; %bb.1:
	v_mov_b32_e32 v1, 0
	s_ashr_i32 s13, s12, 31
	v_add_u32_e32 v2, 1, v0
	v_mov_b32_e32 v3, v1
	s_load_dwordx4 s[8:11], s[4:5], 0x0
	s_load_dword s1, s[4:5], 0x24
	v_cmp_lt_i64_e32 vcc, s[12:13], v[2:3]
	v_mov_b32_e32 v4, s13
	v_cndmask_b32_e64 v3, v4, 0, vcc
	v_mov_b32_e32 v4, s12
	s_mul_hi_u32 s0, s6, s12
	s_mul_i32 s2, s6, s13
	v_cndmask_b32_e32 v2, v4, v2, vcc
	s_add_i32 s5, s0, s2
	s_mul_i32 s4, s6, s12
	v_sub_co_u32_e32 v2, vcc, v2, v0
	s_lshl_b64 s[14:15], s[4:5], 2
	s_waitcnt lgkmcnt(0)
	s_and_b32 s18, s1, 0xffff
	v_subbrev_co_u32_e32 v3, vcc, 0, v3, vcc
	v_cmp_lt_u64_e32 vcc, 1, v[2:3]
	s_cmp_eq_u32 s18, 1
	s_cselect_b64 s[0:1], -1, 0
	s_and_b64 s[2:3], vcc, s[0:1]
	s_mov_b64 s[0:1], -1
	s_and_saveexec_b64 s[16:17], s[2:3]
	s_cbranch_execz .LBB5_5
; %bb.2:
	s_lshl_b64 s[0:1], s[4:5], 1
	v_lshlrev_b64 v[10:11], 1, v[0:1]
	s_add_u32 s0, s8, s0
	s_mov_b32 s7, 0
	s_addc_u32 s1, s9, s1
	v_mov_b32_e32 v1, s1
	v_add_co_u32_e32 v6, vcc, s0, v10
	s_lshl_b64 s[0:1], s[6:7], 2
	s_or_b32 s0, s0, 2
	s_mul_i32 s2, s0, s13
	s_mul_hi_u32 s3, s0, s12
	s_add_i32 s2, s3, s2
	s_mul_i32 s1, s1, s12
	s_add_i32 s2, s2, s1
	s_mul_i32 s0, s0, s12
	s_add_u32 s0, s10, s0
	v_addc_co_u32_e32 v7, vcc, v1, v11, vcc
	s_addc_u32 s1, s11, s2
	v_mov_b32_e32 v1, s1
	v_add_co_u32_e32 v8, vcc, s0, v10
	s_add_u32 s0, s10, s14
	v_mov_b32_e32 v5, v3
	v_addc_co_u32_e32 v9, vcc, v1, v11, vcc
	s_addc_u32 s1, s11, s15
	v_and_b32_e32 v4, -2, v2
	v_mov_b32_e32 v1, s1
	v_add_co_u32_e32 v10, vcc, s0, v10
	v_mov_b32_e32 v13, v5
	v_addc_co_u32_e32 v11, vcc, v1, v11, vcc
	s_mov_b64 s[6:7], 0
	s_movk_i32 s19, 0x7fff
	v_mov_b32_e32 v1, 0x7fc00000
	s_mov_b32 s20, 0x3fb8aa3b
	s_mov_b32 s21, 0xc2ce8ed0
	;; [unrolled: 1-line block ×3, first 2 shown]
	v_mov_b32_e32 v14, 0x7f800000
	v_mov_b32_e32 v15, 0x7fc0
	s_mov_b32 s23, 0x5040100
	v_mov_b32_e32 v16, 1
	v_mov_b32_e32 v12, v4
.LBB5_3:                                ; =>This Inner Loop Header: Depth=1
	global_load_dword v20, v[8:9], off
	s_waitcnt vmcnt(0)
	v_lshlrev_b32_e32 v17, 16, v20
	v_xor_b32_e32 v18, 0x80000000, v17
	v_and_b32_sdwa v19, v18, v16 dst_sel:DWORD dst_unused:UNUSED_PAD src0_sel:WORD_1 src1_sel:DWORD
	v_add3_u32 v18, v18, v19, s19
	v_cmp_o_f32_e32 vcc, v17, v17
	v_and_b32_e32 v18, 0xffff0000, v18
	v_cndmask_b32_e32 v18, v1, v18, vcc
	v_mul_f32_e32 v19, 0x3fb8aa3b, v18
	v_fma_f32 v21, v18, s20, -v19
	v_cmp_ngt_f32_e32 vcc, s21, v18
	v_cmp_nlt_f32_e64 s[0:1], s22, v18
	v_fmac_f32_e32 v21, 0x32a5705f, v18
	v_rndne_f32_e32 v18, v19
	v_sub_f32_e32 v19, v19, v18
	v_add_f32_e32 v19, v19, v21
	v_cvt_i32_f32_e32 v18, v18
	v_exp_f32_e32 v19, v19
	v_and_b32_e32 v20, 0xffff0000, v20
	v_ldexp_f32 v18, v19, v18
	v_cndmask_b32_e32 v18, 0, v18, vcc
	v_cndmask_b32_e64 v18, v14, v18, s[0:1]
	v_add_f32_e32 v18, 1.0, v18
	v_div_scale_f32 v19, s[0:1], v18, v18, v17
	v_rcp_f32_e32 v21, v19
	v_fma_f32 v22, -v19, v21, 1.0
	v_fmac_f32_e32 v21, v22, v21
	v_div_scale_f32 v22, vcc, v17, v18, v17
	v_mul_f32_e32 v23, v22, v21
	v_fma_f32 v24, -v19, v23, v22
	v_fmac_f32_e32 v23, v24, v21
	v_fma_f32 v19, -v19, v23, v22
	v_div_fmas_f32 v19, v19, v21, v23
	v_xor_b32_e32 v21, 0x80000000, v20
	v_and_b32_sdwa v22, v21, v16 dst_sel:DWORD dst_unused:UNUSED_PAD src0_sel:WORD_1 src1_sel:DWORD
	v_add3_u32 v21, v21, v22, s19
	v_cmp_o_f32_e32 vcc, v20, v20
	v_and_b32_e32 v21, 0xffff0000, v21
	v_cndmask_b32_e32 v21, v1, v21, vcc
	v_mul_f32_e32 v22, 0x3fb8aa3b, v21
	v_fma_f32 v23, v21, s20, -v22
	v_cmp_ngt_f32_e32 vcc, s21, v21
	v_cmp_nlt_f32_e64 s[0:1], s22, v21
	v_fmac_f32_e32 v23, 0x32a5705f, v21
	v_rndne_f32_e32 v21, v22
	v_sub_f32_e32 v22, v22, v21
	v_add_f32_e32 v22, v22, v23
	v_cvt_i32_f32_e32 v21, v21
	v_exp_f32_e32 v22, v22
	v_div_fixup_f32 v17, v19, v18, v17
	v_and_b32_sdwa v19, v17, v16 dst_sel:DWORD dst_unused:UNUSED_PAD src0_sel:WORD_1 src1_sel:DWORD
	v_ldexp_f32 v21, v22, v21
	v_cndmask_b32_e32 v21, 0, v21, vcc
	v_cndmask_b32_e64 v21, v14, v21, s[0:1]
	v_add_f32_e32 v21, 1.0, v21
	v_div_scale_f32 v22, s[0:1], v21, v21, v20
	v_rcp_f32_e32 v23, v22
	v_fma_f32 v24, -v22, v23, 1.0
	v_fmac_f32_e32 v23, v24, v23
	v_div_scale_f32 v24, vcc, v20, v21, v20
	v_mul_f32_e32 v25, v24, v23
	v_fma_f32 v26, -v22, v25, v24
	v_fmac_f32_e32 v25, v26, v23
	v_fma_f32 v22, -v22, v25, v24
	v_div_fmas_f32 v22, v22, v23, v25
	v_cmp_o_f32_e32 vcc, v17, v17
	v_add3_u32 v17, v17, v19, s19
	v_and_b32_e32 v17, 0xffff0000, v17
	v_cndmask_b32_e32 v17, v1, v17, vcc
	v_div_fixup_f32 v18, v22, v21, v20
	v_and_b32_sdwa v19, v18, v16 dst_sel:DWORD dst_unused:UNUSED_PAD src0_sel:WORD_1 src1_sel:DWORD
	v_cmp_o_f32_e64 s[0:1], v18, v18
	v_add3_u32 v18, v18, v19, s19
	global_load_dword v19, v[10:11], off
	v_and_b32_e32 v18, 0xffff0000, v18
	v_cndmask_b32_e64 v18, v1, v18, s[0:1]
	v_add_co_u32_e64 v10, s[2:3], 4, v10
	s_waitcnt vmcnt(0)
	v_lshlrev_b32_e32 v20, 16, v19
	v_mul_f32_e32 v17, v17, v20
	v_and_b32_e32 v19, 0xffff0000, v19
	v_mul_f32_e32 v18, v18, v19
	v_and_b32_sdwa v19, v17, v16 dst_sel:DWORD dst_unused:UNUSED_PAD src0_sel:WORD_1 src1_sel:DWORD
	v_cmp_o_f32_e32 vcc, v17, v17
	v_add3_u32 v17, v17, v19, s19
	v_and_b32_sdwa v19, v18, v16 dst_sel:DWORD dst_unused:UNUSED_PAD src0_sel:WORD_1 src1_sel:DWORD
	v_cmp_o_f32_e64 s[0:1], v18, v18
	v_add3_u32 v18, v18, v19, s19
	v_lshrrev_b32_e32 v17, 16, v17
	v_lshrrev_b32_e32 v18, 16, v18
	v_cndmask_b32_e32 v17, v15, v17, vcc
	v_cndmask_b32_e64 v18, v15, v18, s[0:1]
	v_add_co_u32_e32 v12, vcc, -2, v12
	v_add_co_u32_e64 v8, s[0:1], 4, v8
	v_addc_co_u32_e32 v13, vcc, -1, v13, vcc
	v_addc_co_u32_e64 v9, vcc, 0, v9, s[0:1]
	v_addc_co_u32_e64 v11, vcc, 0, v11, s[2:3]
	v_cmp_eq_u64_e32 vcc, 0, v[12:13]
	v_perm_b32 v17, v18, v17, s23
	s_or_b64 s[6:7], vcc, s[6:7]
	global_store_dword v[6:7], v17, off
	v_add_co_u32_e32 v6, vcc, 4, v6
	v_addc_co_u32_e32 v7, vcc, 0, v7, vcc
	s_andn2_b64 exec, exec, s[6:7]
	s_cbranch_execnz .LBB5_3
; %bb.4:
	s_or_b64 exec, exec, s[6:7]
	v_cmp_ne_u64_e32 vcc, v[2:3], v[4:5]
	v_add_co_u32_e64 v0, s[0:1], v4, v0
	v_addc_co_u32_e64 v1, s[0:1], 0, v5, s[0:1]
	s_orn2_b64 s[0:1], vcc, exec
.LBB5_5:
	s_or_b64 exec, exec, s[16:17]
	s_and_b64 exec, exec, s[0:1]
	s_cbranch_execz .LBB5_8
; %bb.6:
	s_add_u32 s6, s10, s14
	s_addc_u32 s10, s11, s15
	s_lshl_b64 s[0:1], s[12:13], 1
	s_add_u32 s7, s6, s0
	s_addc_u32 s11, s10, s1
	s_lshl_b64 s[0:1], s[4:5], 1
	s_add_u32 s4, s8, s0
	s_addc_u32 s0, s9, s1
	v_lshlrev_b64 v[2:3], 1, v[0:1]
	s_lshl_b32 s5, s18, 1
	s_mov_b64 s[2:3], 0
	v_mov_b32_e32 v4, s10
	v_mov_b32_e32 v5, s11
	s_movk_i32 s8, 0x7fff
	v_mov_b32_e32 v6, 0x7fc00000
	s_mov_b32 s9, 0x3fb8aa3b
	s_mov_b32 s10, 0xc2ce8ed0
	;; [unrolled: 1-line block ×3, first 2 shown]
	v_mov_b32_e32 v7, 0x7f800000
	v_mov_b32_e32 v8, 0x7fc0
	;; [unrolled: 1-line block ×3, first 2 shown]
.LBB5_7:                                ; =>This Inner Loop Header: Depth=1
	v_add_co_u32_e32 v10, vcc, s7, v2
	v_addc_co_u32_e32 v11, vcc, v5, v3, vcc
	global_load_ushort v12, v[10:11], off
	v_add_co_u32_e32 v10, vcc, s6, v2
	v_addc_co_u32_e32 v11, vcc, v4, v3, vcc
	global_load_ushort v13, v[10:11], off
	s_waitcnt vmcnt(1)
	v_lshlrev_b32_e32 v12, 16, v12
	v_xor_b32_e32 v10, 0x80000000, v12
	v_bfe_u32 v11, v10, 16, 1
	v_add3_u32 v10, v10, v11, s8
	v_and_b32_e32 v10, 0xffff0000, v10
	v_cmp_o_f32_e32 vcc, v12, v12
	v_cndmask_b32_e32 v10, v6, v10, vcc
	v_mul_f32_e32 v11, 0x3fb8aa3b, v10
	v_fma_f32 v14, v10, s9, -v11
	v_rndne_f32_e32 v15, v11
	v_fmac_f32_e32 v14, 0x32a5705f, v10
	v_sub_f32_e32 v11, v11, v15
	v_add_f32_e32 v11, v11, v14
	v_cvt_i32_f32_e32 v15, v15
	v_exp_f32_e32 v11, v11
	v_cmp_ngt_f32_e32 vcc, s10, v10
	s_waitcnt vmcnt(0)
	v_lshlrev_b32_e32 v13, 16, v13
	v_ldexp_f32 v11, v11, v15
	v_cndmask_b32_e32 v11, 0, v11, vcc
	v_cmp_nlt_f32_e32 vcc, s11, v10
	v_cndmask_b32_e32 v10, v7, v11, vcc
	v_add_f32_e32 v14, 1.0, v10
	v_div_scale_f32 v11, s[0:1], v14, v14, v12
	v_div_scale_f32 v15, vcc, v12, v14, v12
	v_add_co_u32_e64 v10, s[0:1], s4, v2
	v_rcp_f32_e32 v16, v11
	v_fma_f32 v17, -v11, v16, 1.0
	v_fmac_f32_e32 v16, v17, v16
	v_mul_f32_e32 v17, v15, v16
	v_fma_f32 v18, -v11, v17, v15
	v_fmac_f32_e32 v17, v18, v16
	v_fma_f32 v11, -v11, v17, v15
	v_div_fmas_f32 v15, v11, v16, v17
	v_addc_co_u32_e64 v11, vcc, v9, v3, s[0:1]
	v_add_co_u32_e32 v0, vcc, s18, v0
	v_addc_co_u32_e32 v1, vcc, 0, v1, vcc
	v_add_co_u32_e32 v2, vcc, s5, v2
	v_addc_co_u32_e32 v3, vcc, 0, v3, vcc
	v_cmp_le_i64_e32 vcc, s[12:13], v[0:1]
	s_or_b64 s[2:3], vcc, s[2:3]
	v_div_fixup_f32 v12, v15, v14, v12
	v_bfe_u32 v14, v12, 16, 1
	v_add3_u32 v14, v12, v14, s8
	v_and_b32_e32 v14, 0xffff0000, v14
	v_cmp_o_f32_e32 vcc, v12, v12
	v_cndmask_b32_e32 v12, v6, v14, vcc
	v_mul_f32_e32 v12, v12, v13
	v_bfe_u32 v13, v12, 16, 1
	v_add3_u32 v13, v12, v13, s8
	v_lshrrev_b32_e32 v13, 16, v13
	v_cmp_o_f32_e32 vcc, v12, v12
	v_cndmask_b32_e32 v12, v8, v13, vcc
	global_store_short v[10:11], v12, off
	s_andn2_b64 exec, exec, s[2:3]
	s_cbranch_execnz .LBB5_7
.LBB5_8:
	s_endpgm
	.section	.rodata,"a",@progbits
	.p2align	6, 0x0
	.amdhsa_kernel _ZN4vllm18act_and_mul_kernelIN3c108BFloat16ETnPFT_RKS3_EXadL_ZNS_11silu_kernelIS2_EES3_S5_EELb0EEEvPS3_PS4_i
		.amdhsa_group_segment_fixed_size 0
		.amdhsa_private_segment_fixed_size 0
		.amdhsa_kernarg_size 280
		.amdhsa_user_sgpr_count 6
		.amdhsa_user_sgpr_private_segment_buffer 1
		.amdhsa_user_sgpr_dispatch_ptr 0
		.amdhsa_user_sgpr_queue_ptr 0
		.amdhsa_user_sgpr_kernarg_segment_ptr 1
		.amdhsa_user_sgpr_dispatch_id 0
		.amdhsa_user_sgpr_flat_scratch_init 0
		.amdhsa_user_sgpr_private_segment_size 0
		.amdhsa_uses_dynamic_stack 0
		.amdhsa_system_sgpr_private_segment_wavefront_offset 0
		.amdhsa_system_sgpr_workgroup_id_x 1
		.amdhsa_system_sgpr_workgroup_id_y 0
		.amdhsa_system_sgpr_workgroup_id_z 0
		.amdhsa_system_sgpr_workgroup_info 0
		.amdhsa_system_vgpr_workitem_id 0
		.amdhsa_next_free_vgpr 27
		.amdhsa_next_free_sgpr 24
		.amdhsa_reserve_vcc 1
		.amdhsa_reserve_flat_scratch 0
		.amdhsa_float_round_mode_32 0
		.amdhsa_float_round_mode_16_64 0
		.amdhsa_float_denorm_mode_32 3
		.amdhsa_float_denorm_mode_16_64 3
		.amdhsa_dx10_clamp 1
		.amdhsa_ieee_mode 1
		.amdhsa_fp16_overflow 0
		.amdhsa_exception_fp_ieee_invalid_op 0
		.amdhsa_exception_fp_denorm_src 0
		.amdhsa_exception_fp_ieee_div_zero 0
		.amdhsa_exception_fp_ieee_overflow 0
		.amdhsa_exception_fp_ieee_underflow 0
		.amdhsa_exception_fp_ieee_inexact 0
		.amdhsa_exception_int_div_zero 0
	.end_amdhsa_kernel
	.section	.text._ZN4vllm18act_and_mul_kernelIN3c108BFloat16ETnPFT_RKS3_EXadL_ZNS_11silu_kernelIS2_EES3_S5_EELb0EEEvPS3_PS4_i,"axG",@progbits,_ZN4vllm18act_and_mul_kernelIN3c108BFloat16ETnPFT_RKS3_EXadL_ZNS_11silu_kernelIS2_EES3_S5_EELb0EEEvPS3_PS4_i,comdat
.Lfunc_end5:
	.size	_ZN4vllm18act_and_mul_kernelIN3c108BFloat16ETnPFT_RKS3_EXadL_ZNS_11silu_kernelIS2_EES3_S5_EELb0EEEvPS3_PS4_i, .Lfunc_end5-_ZN4vllm18act_and_mul_kernelIN3c108BFloat16ETnPFT_RKS3_EXadL_ZNS_11silu_kernelIS2_EES3_S5_EELb0EEEvPS3_PS4_i
                                        ; -- End function
	.set _ZN4vllm18act_and_mul_kernelIN3c108BFloat16ETnPFT_RKS3_EXadL_ZNS_11silu_kernelIS2_EES3_S5_EELb0EEEvPS3_PS4_i.num_vgpr, 27
	.set _ZN4vllm18act_and_mul_kernelIN3c108BFloat16ETnPFT_RKS3_EXadL_ZNS_11silu_kernelIS2_EES3_S5_EELb0EEEvPS3_PS4_i.num_agpr, 0
	.set _ZN4vllm18act_and_mul_kernelIN3c108BFloat16ETnPFT_RKS3_EXadL_ZNS_11silu_kernelIS2_EES3_S5_EELb0EEEvPS3_PS4_i.numbered_sgpr, 24
	.set _ZN4vllm18act_and_mul_kernelIN3c108BFloat16ETnPFT_RKS3_EXadL_ZNS_11silu_kernelIS2_EES3_S5_EELb0EEEvPS3_PS4_i.num_named_barrier, 0
	.set _ZN4vllm18act_and_mul_kernelIN3c108BFloat16ETnPFT_RKS3_EXadL_ZNS_11silu_kernelIS2_EES3_S5_EELb0EEEvPS3_PS4_i.private_seg_size, 0
	.set _ZN4vllm18act_and_mul_kernelIN3c108BFloat16ETnPFT_RKS3_EXadL_ZNS_11silu_kernelIS2_EES3_S5_EELb0EEEvPS3_PS4_i.uses_vcc, 1
	.set _ZN4vllm18act_and_mul_kernelIN3c108BFloat16ETnPFT_RKS3_EXadL_ZNS_11silu_kernelIS2_EES3_S5_EELb0EEEvPS3_PS4_i.uses_flat_scratch, 0
	.set _ZN4vllm18act_and_mul_kernelIN3c108BFloat16ETnPFT_RKS3_EXadL_ZNS_11silu_kernelIS2_EES3_S5_EELb0EEEvPS3_PS4_i.has_dyn_sized_stack, 0
	.set _ZN4vllm18act_and_mul_kernelIN3c108BFloat16ETnPFT_RKS3_EXadL_ZNS_11silu_kernelIS2_EES3_S5_EELb0EEEvPS3_PS4_i.has_recursion, 0
	.set _ZN4vllm18act_and_mul_kernelIN3c108BFloat16ETnPFT_RKS3_EXadL_ZNS_11silu_kernelIS2_EES3_S5_EELb0EEEvPS3_PS4_i.has_indirect_call, 0
	.section	.AMDGPU.csdata,"",@progbits
; Kernel info:
; codeLenInByte = 1504
; TotalNumSgprs: 28
; NumVgprs: 27
; ScratchSize: 0
; MemoryBound: 0
; FloatMode: 240
; IeeeMode: 1
; LDSByteSize: 0 bytes/workgroup (compile time only)
; SGPRBlocks: 3
; VGPRBlocks: 6
; NumSGPRsForWavesPerEU: 28
; NumVGPRsForWavesPerEU: 27
; Occupancy: 9
; WaveLimiterHint : 0
; COMPUTE_PGM_RSRC2:SCRATCH_EN: 0
; COMPUTE_PGM_RSRC2:USER_SGPR: 6
; COMPUTE_PGM_RSRC2:TRAP_HANDLER: 0
; COMPUTE_PGM_RSRC2:TGID_X_EN: 1
; COMPUTE_PGM_RSRC2:TGID_Y_EN: 0
; COMPUTE_PGM_RSRC2:TGID_Z_EN: 0
; COMPUTE_PGM_RSRC2:TIDIG_COMP_CNT: 0
	.section	.text._ZN4vllm18act_and_mul_kernelIfTnPFT_RKS1_EXadL_ZNS_11gelu_kernelIfEES1_S3_EELb1EEEvPS1_PS2_i,"axG",@progbits,_ZN4vllm18act_and_mul_kernelIfTnPFT_RKS1_EXadL_ZNS_11gelu_kernelIfEES1_S3_EELb1EEEvPS1_PS2_i,comdat
	.protected	_ZN4vllm18act_and_mul_kernelIfTnPFT_RKS1_EXadL_ZNS_11gelu_kernelIfEES1_S3_EELb1EEEvPS1_PS2_i ; -- Begin function _ZN4vllm18act_and_mul_kernelIfTnPFT_RKS1_EXadL_ZNS_11gelu_kernelIfEES1_S3_EELb1EEEvPS1_PS2_i
	.globl	_ZN4vllm18act_and_mul_kernelIfTnPFT_RKS1_EXadL_ZNS_11gelu_kernelIfEES1_S3_EELb1EEEvPS1_PS2_i
	.p2align	8
	.type	_ZN4vllm18act_and_mul_kernelIfTnPFT_RKS1_EXadL_ZNS_11gelu_kernelIfEES1_S3_EELb1EEEvPS1_PS2_i,@function
_ZN4vllm18act_and_mul_kernelIfTnPFT_RKS1_EXadL_ZNS_11gelu_kernelIfEES1_S3_EELb1EEEvPS1_PS2_i: ; @_ZN4vllm18act_and_mul_kernelIfTnPFT_RKS1_EXadL_ZNS_11gelu_kernelIfEES1_S3_EELb1EEEvPS1_PS2_i
; %bb.0:
	s_load_dword s0, s[4:5], 0x10
	s_waitcnt lgkmcnt(0)
	v_cmp_gt_i32_e32 vcc, s0, v0
	s_and_saveexec_b64 s[2:3], vcc
	s_cbranch_execz .LBB6_7
; %bb.1:
	s_load_dwordx4 s[8:11], s[4:5], 0x0
	s_load_dword s12, s[4:5], 0x24
	s_ashr_i32 s1, s0, 31
	s_mul_hi_u32 s2, s6, s0
	s_mul_i32 s3, s6, s1
	s_add_i32 s3, s2, s3
	s_mul_i32 s2, s6, s0
	s_lshl_b64 s[6:7], s[2:3], 3
	s_waitcnt lgkmcnt(0)
	s_add_u32 s6, s10, s6
	s_addc_u32 s11, s11, s7
	s_lshl_b64 s[4:5], s[0:1], 2
	s_add_u32 s7, s6, s4
	s_addc_u32 s4, s11, s5
	s_lshl_b64 s[2:3], s[2:3], 2
	s_add_u32 s8, s8, s2
	v_mov_b32_e32 v1, 0
	s_addc_u32 s5, s9, s3
	s_and_b32 s9, s12, 0xffff
	v_lshlrev_b32_e32 v2, 2, v0
	v_mov_b32_e32 v3, v1
	s_lshl_b32 s10, s9, 2
	s_mov_b64 s[2:3], 0
	v_mov_b32_e32 v4, s11
	v_mov_b32_e32 v5, s4
	s_mov_b32 s11, 0x378e98ab
	s_mov_b32 s12, 0x3b7cd369
	;; [unrolled: 1-line block ×9, first 2 shown]
	v_mov_b32_e32 v6, 0xbcdac9b8
	v_mov_b32_e32 v7, 0x3de703be
	;; [unrolled: 1-line block ×4, first 2 shown]
	s_brev_b32 s20, -2
	v_mov_b32_e32 v10, s5
	v_mov_b32_e32 v11, 0xb9c68948
	;; [unrolled: 1-line block ×3, first 2 shown]
	s_branch .LBB6_3
.LBB6_2:                                ;   in Loop: Header=BB6_3 Depth=1
	s_or_b64 exec, exec, s[4:5]
	v_bfi_b32 v15, s20, v16, v15
	v_mul_f32_e32 v13, 0.5, v13
	v_add_f32_e32 v15, 1.0, v15
	v_mul_f32_e32 v13, v13, v15
	s_waitcnt vmcnt(0)
	v_mul_f32_e32 v15, v14, v13
	v_add_co_u32_e32 v13, vcc, s8, v2
	v_addc_co_u32_e32 v14, vcc, v10, v3, vcc
	v_add_co_u32_e32 v0, vcc, s9, v0
	v_addc_co_u32_e32 v1, vcc, 0, v1, vcc
	v_cmp_le_i64_e32 vcc, s[0:1], v[0:1]
	global_store_dword v[13:14], v15, off
	s_or_b64 s[2:3], vcc, s[2:3]
	v_add_co_u32_e32 v2, vcc, s10, v2
	v_addc_co_u32_e32 v3, vcc, 0, v3, vcc
	s_andn2_b64 exec, exec, s[2:3]
	s_cbranch_execz .LBB6_7
.LBB6_3:                                ; =>This Inner Loop Header: Depth=1
	v_add_co_u32_e32 v13, vcc, s6, v2
	v_addc_co_u32_e32 v14, vcc, v4, v3, vcc
	global_load_dword v13, v[13:14], off
	v_add_co_u32_e32 v14, vcc, s7, v2
	v_addc_co_u32_e32 v15, vcc, v5, v3, vcc
	global_load_dword v14, v[14:15], off
                                        ; implicit-def: $vgpr16
	s_waitcnt vmcnt(1)
	v_mul_f32_e32 v15, 0x3f3504f3, v13
	v_cmp_nlt_f32_e64 s[4:5], |v15|, 1.0
	s_and_saveexec_b64 s[22:23], s[4:5]
	s_xor_b64 s[4:5], exec, s[22:23]
	s_cbranch_execz .LBB6_5
; %bb.4:                                ;   in Loop: Header=BB6_3 Depth=1
	v_fma_f32 v16, |v15|, s11, v11
	v_fma_f32 v16, |v15|, v16, s12
	;; [unrolled: 1-line block ×6, first 2 shown]
	v_fma_f32 v16, |v15|, v16, |v15|
	v_mul_f32_e32 v17, 0xbfb8aa3b, v16
	v_fma_f32 v18, v16, s17, -v17
	v_rndne_f32_e32 v19, v17
	v_fmac_f32_e32 v18, 0xb2a5705f, v16
	v_sub_f32_e32 v17, v17, v19
	v_add_f32_e32 v17, v17, v18
	v_cvt_i32_f32_e32 v18, v19
	v_exp_f32_e32 v17, v17
	v_cmp_nlt_f32_e32 vcc, s18, v16
	v_ldexp_f32 v17, v17, v18
	v_cndmask_b32_e32 v17, 0, v17, vcc
	v_cmp_ngt_f32_e32 vcc, s19, v16
	v_cndmask_b32_e32 v16, v12, v17, vcc
	v_sub_f32_e32 v16, 1.0, v16
.LBB6_5:                                ;   in Loop: Header=BB6_3 Depth=1
	s_andn2_saveexec_b64 s[4:5], s[4:5]
	s_cbranch_execz .LBB6_2
; %bb.6:                                ;   in Loop: Header=BB6_3 Depth=1
	v_mul_f32_e32 v16, v15, v15
	v_mov_b32_e32 v17, 0x3ba10414
	v_fmac_f32_e32 v17, 0xba1345e1, v16
	v_fma_f32 v17, v16, v17, v6
	v_fma_f32 v17, v16, v17, v7
	;; [unrolled: 1-line block ×4, first 2 shown]
	v_fma_f32 v16, |v15|, v16, |v15|
	s_branch .LBB6_2
.LBB6_7:
	s_endpgm
	.section	.rodata,"a",@progbits
	.p2align	6, 0x0
	.amdhsa_kernel _ZN4vllm18act_and_mul_kernelIfTnPFT_RKS1_EXadL_ZNS_11gelu_kernelIfEES1_S3_EELb1EEEvPS1_PS2_i
		.amdhsa_group_segment_fixed_size 0
		.amdhsa_private_segment_fixed_size 0
		.amdhsa_kernarg_size 280
		.amdhsa_user_sgpr_count 6
		.amdhsa_user_sgpr_private_segment_buffer 1
		.amdhsa_user_sgpr_dispatch_ptr 0
		.amdhsa_user_sgpr_queue_ptr 0
		.amdhsa_user_sgpr_kernarg_segment_ptr 1
		.amdhsa_user_sgpr_dispatch_id 0
		.amdhsa_user_sgpr_flat_scratch_init 0
		.amdhsa_user_sgpr_private_segment_size 0
		.amdhsa_uses_dynamic_stack 0
		.amdhsa_system_sgpr_private_segment_wavefront_offset 0
		.amdhsa_system_sgpr_workgroup_id_x 1
		.amdhsa_system_sgpr_workgroup_id_y 0
		.amdhsa_system_sgpr_workgroup_id_z 0
		.amdhsa_system_sgpr_workgroup_info 0
		.amdhsa_system_vgpr_workitem_id 0
		.amdhsa_next_free_vgpr 20
		.amdhsa_next_free_sgpr 24
		.amdhsa_reserve_vcc 1
		.amdhsa_reserve_flat_scratch 0
		.amdhsa_float_round_mode_32 0
		.amdhsa_float_round_mode_16_64 0
		.amdhsa_float_denorm_mode_32 3
		.amdhsa_float_denorm_mode_16_64 3
		.amdhsa_dx10_clamp 1
		.amdhsa_ieee_mode 1
		.amdhsa_fp16_overflow 0
		.amdhsa_exception_fp_ieee_invalid_op 0
		.amdhsa_exception_fp_denorm_src 0
		.amdhsa_exception_fp_ieee_div_zero 0
		.amdhsa_exception_fp_ieee_overflow 0
		.amdhsa_exception_fp_ieee_underflow 0
		.amdhsa_exception_fp_ieee_inexact 0
		.amdhsa_exception_int_div_zero 0
	.end_amdhsa_kernel
	.section	.text._ZN4vllm18act_and_mul_kernelIfTnPFT_RKS1_EXadL_ZNS_11gelu_kernelIfEES1_S3_EELb1EEEvPS1_PS2_i,"axG",@progbits,_ZN4vllm18act_and_mul_kernelIfTnPFT_RKS1_EXadL_ZNS_11gelu_kernelIfEES1_S3_EELb1EEEvPS1_PS2_i,comdat
.Lfunc_end6:
	.size	_ZN4vllm18act_and_mul_kernelIfTnPFT_RKS1_EXadL_ZNS_11gelu_kernelIfEES1_S3_EELb1EEEvPS1_PS2_i, .Lfunc_end6-_ZN4vllm18act_and_mul_kernelIfTnPFT_RKS1_EXadL_ZNS_11gelu_kernelIfEES1_S3_EELb1EEEvPS1_PS2_i
                                        ; -- End function
	.set _ZN4vllm18act_and_mul_kernelIfTnPFT_RKS1_EXadL_ZNS_11gelu_kernelIfEES1_S3_EELb1EEEvPS1_PS2_i.num_vgpr, 20
	.set _ZN4vllm18act_and_mul_kernelIfTnPFT_RKS1_EXadL_ZNS_11gelu_kernelIfEES1_S3_EELb1EEEvPS1_PS2_i.num_agpr, 0
	.set _ZN4vllm18act_and_mul_kernelIfTnPFT_RKS1_EXadL_ZNS_11gelu_kernelIfEES1_S3_EELb1EEEvPS1_PS2_i.numbered_sgpr, 24
	.set _ZN4vllm18act_and_mul_kernelIfTnPFT_RKS1_EXadL_ZNS_11gelu_kernelIfEES1_S3_EELb1EEEvPS1_PS2_i.num_named_barrier, 0
	.set _ZN4vllm18act_and_mul_kernelIfTnPFT_RKS1_EXadL_ZNS_11gelu_kernelIfEES1_S3_EELb1EEEvPS1_PS2_i.private_seg_size, 0
	.set _ZN4vllm18act_and_mul_kernelIfTnPFT_RKS1_EXadL_ZNS_11gelu_kernelIfEES1_S3_EELb1EEEvPS1_PS2_i.uses_vcc, 1
	.set _ZN4vllm18act_and_mul_kernelIfTnPFT_RKS1_EXadL_ZNS_11gelu_kernelIfEES1_S3_EELb1EEEvPS1_PS2_i.uses_flat_scratch, 0
	.set _ZN4vllm18act_and_mul_kernelIfTnPFT_RKS1_EXadL_ZNS_11gelu_kernelIfEES1_S3_EELb1EEEvPS1_PS2_i.has_dyn_sized_stack, 0
	.set _ZN4vllm18act_and_mul_kernelIfTnPFT_RKS1_EXadL_ZNS_11gelu_kernelIfEES1_S3_EELb1EEEvPS1_PS2_i.has_recursion, 0
	.set _ZN4vllm18act_and_mul_kernelIfTnPFT_RKS1_EXadL_ZNS_11gelu_kernelIfEES1_S3_EELb1EEEvPS1_PS2_i.has_indirect_call, 0
	.section	.AMDGPU.csdata,"",@progbits
; Kernel info:
; codeLenInByte = 616
; TotalNumSgprs: 28
; NumVgprs: 20
; ScratchSize: 0
; MemoryBound: 0
; FloatMode: 240
; IeeeMode: 1
; LDSByteSize: 0 bytes/workgroup (compile time only)
; SGPRBlocks: 3
; VGPRBlocks: 4
; NumSGPRsForWavesPerEU: 28
; NumVGPRsForWavesPerEU: 20
; Occupancy: 10
; WaveLimiterHint : 0
; COMPUTE_PGM_RSRC2:SCRATCH_EN: 0
; COMPUTE_PGM_RSRC2:USER_SGPR: 6
; COMPUTE_PGM_RSRC2:TRAP_HANDLER: 0
; COMPUTE_PGM_RSRC2:TGID_X_EN: 1
; COMPUTE_PGM_RSRC2:TGID_Y_EN: 0
; COMPUTE_PGM_RSRC2:TGID_Z_EN: 0
; COMPUTE_PGM_RSRC2:TIDIG_COMP_CNT: 0
	.section	.text._ZN4vllm18act_and_mul_kernelIN3c104HalfETnPFT_RKS3_EXadL_ZNS_11gelu_kernelIS2_EES3_S5_EELb1EEEvPS3_PS4_i,"axG",@progbits,_ZN4vllm18act_and_mul_kernelIN3c104HalfETnPFT_RKS3_EXadL_ZNS_11gelu_kernelIS2_EES3_S5_EELb1EEEvPS3_PS4_i,comdat
	.protected	_ZN4vllm18act_and_mul_kernelIN3c104HalfETnPFT_RKS3_EXadL_ZNS_11gelu_kernelIS2_EES3_S5_EELb1EEEvPS3_PS4_i ; -- Begin function _ZN4vllm18act_and_mul_kernelIN3c104HalfETnPFT_RKS3_EXadL_ZNS_11gelu_kernelIS2_EES3_S5_EELb1EEEvPS3_PS4_i
	.globl	_ZN4vllm18act_and_mul_kernelIN3c104HalfETnPFT_RKS3_EXadL_ZNS_11gelu_kernelIS2_EES3_S5_EELb1EEEvPS3_PS4_i
	.p2align	8
	.type	_ZN4vllm18act_and_mul_kernelIN3c104HalfETnPFT_RKS3_EXadL_ZNS_11gelu_kernelIS2_EES3_S5_EELb1EEEvPS3_PS4_i,@function
_ZN4vllm18act_and_mul_kernelIN3c104HalfETnPFT_RKS3_EXadL_ZNS_11gelu_kernelIS2_EES3_S5_EELb1EEEvPS3_PS4_i: ; @_ZN4vllm18act_and_mul_kernelIN3c104HalfETnPFT_RKS3_EXadL_ZNS_11gelu_kernelIS2_EES3_S5_EELb1EEEvPS3_PS4_i
; %bb.0:
	s_load_dword s12, s[4:5], 0x10
	s_waitcnt lgkmcnt(0)
	v_cmp_gt_i32_e32 vcc, s12, v0
	s_and_saveexec_b64 s[0:1], vcc
	s_cbranch_execz .LBB7_12
; %bb.1:
	v_mov_b32_e32 v1, 0
	s_ashr_i32 s13, s12, 31
	v_add_u32_e32 v2, 1, v0
	v_mov_b32_e32 v3, v1
	s_load_dwordx4 s[8:11], s[4:5], 0x0
	s_load_dword s1, s[4:5], 0x24
	v_cmp_lt_i64_e32 vcc, s[12:13], v[2:3]
	v_mov_b32_e32 v4, s13
	v_cndmask_b32_e64 v3, v4, 0, vcc
	v_mov_b32_e32 v4, s12
	s_mul_hi_u32 s0, s6, s12
	s_mul_i32 s2, s6, s13
	v_cndmask_b32_e32 v2, v4, v2, vcc
	s_add_i32 s5, s0, s2
	s_mul_i32 s4, s6, s12
	v_sub_co_u32_e32 v2, vcc, v2, v0
	s_lshl_b64 s[14:15], s[4:5], 2
	s_waitcnt lgkmcnt(0)
	s_and_b32 s18, s1, 0xffff
	v_subbrev_co_u32_e32 v3, vcc, 0, v3, vcc
	v_cmp_lt_u64_e32 vcc, 1, v[2:3]
	s_cmp_eq_u32 s18, 1
	s_cselect_b64 s[0:1], -1, 0
	s_and_b64 s[2:3], vcc, s[0:1]
	s_mov_b64 s[0:1], -1
	s_and_saveexec_b64 s[16:17], s[2:3]
	s_cbranch_execz .LBB7_5
; %bb.2:
	s_lshl_b64 s[0:1], s[4:5], 1
	v_lshlrev_b64 v[10:11], 1, v[0:1]
	s_add_u32 s0, s8, s0
	s_mov_b32 s7, 0
	s_addc_u32 s1, s9, s1
	v_mov_b32_e32 v1, s1
	v_add_co_u32_e32 v6, vcc, s0, v10
	s_lshl_b64 s[0:1], s[6:7], 2
	s_or_b32 s0, s0, 2
	s_mul_i32 s2, s0, s13
	s_mul_hi_u32 s3, s0, s12
	s_add_i32 s2, s3, s2
	s_mul_i32 s1, s1, s12
	s_add_i32 s2, s2, s1
	s_mul_i32 s0, s0, s12
	s_add_u32 s0, s10, s0
	v_addc_co_u32_e32 v7, vcc, v1, v11, vcc
	s_addc_u32 s1, s11, s2
	v_mov_b32_e32 v1, s1
	v_add_co_u32_e32 v8, vcc, s0, v10
	s_add_u32 s0, s10, s14
	v_mov_b32_e32 v5, v3
	v_addc_co_u32_e32 v9, vcc, v1, v11, vcc
	s_addc_u32 s1, s11, s15
	v_and_b32_e32 v4, -2, v2
	v_mov_b32_e32 v1, s1
	v_add_co_u32_e32 v10, vcc, s0, v10
	v_mov_b32_e32 v13, v5
	v_addc_co_u32_e32 v11, vcc, v1, v11, vcc
	s_mov_b64 s[6:7], 0
	s_mov_b32 s19, 0x378e98ab
	v_mov_b32_e32 v1, 0xb9c68948
	s_mov_b32 s20, 0x3b7cd369
	s_mov_b32 s21, 0xbcc618b2
	;; [unrolled: 1-line block ×8, first 2 shown]
	v_mov_b32_e32 v14, 0x7f800000
	v_mov_b32_e32 v15, 0xbcdac9b8
	;; [unrolled: 1-line block ×5, first 2 shown]
	s_brev_b32 s28, -2
	v_mov_b32_e32 v12, v4
.LBB7_3:                                ; =>This Inner Loop Header: Depth=1
	global_load_dword v20, v[10:11], off
	global_load_dword v19, v[8:9], off
	v_mov_b32_e32 v29, 0x3ba10414
	s_waitcnt vmcnt(1)
	v_cvt_f32_f16_sdwa v21, v20 dst_sel:DWORD dst_unused:UNUSED_PAD src0_sel:WORD_1
	v_cvt_f32_f16_e32 v22, v20
	v_mul_f32_e32 v20, 0x3f3504f3, v21
	v_fma_f32 v25, |v20|, s19, v1
	v_fma_f32 v25, |v20|, v25, s20
	;; [unrolled: 1-line block ×6, first 2 shown]
	v_fma_f32 v25, |v20|, v25, |v20|
	v_mul_f32_e32 v26, 0xbfb8aa3b, v25
	v_fma_f32 v27, v25, s25, -v26
	v_rndne_f32_e32 v28, v26
	v_mul_f32_e32 v23, 0x3f3504f3, v22
	v_fmac_f32_e32 v27, 0xb2a5705f, v25
	v_sub_f32_e32 v26, v26, v28
	v_fma_f32 v24, |v23|, s19, v1
	v_add_f32_e32 v26, v26, v27
	v_fma_f32 v24, |v23|, v24, s20
	v_exp_f32_e32 v26, v26
	v_cvt_i32_f32_e32 v27, v28
	v_fma_f32 v24, |v23|, v24, s21
	v_fma_f32 v24, |v23|, v24, s22
	;; [unrolled: 1-line block ×4, first 2 shown]
	v_ldexp_f32 v26, v26, v27
	v_cmp_nlt_f32_e64 s[2:3], s26, v25
	v_fma_f32 v24, |v23|, v24, |v23|
	v_cndmask_b32_e64 v26, 0, v26, s[2:3]
	v_cmp_ngt_f32_e64 s[2:3], s27, v25
	v_cndmask_b32_e64 v25, v14, v26, s[2:3]
	v_mul_f32_e32 v26, 0xbfb8aa3b, v24
	v_fma_f32 v27, v24, s25, -v26
	v_rndne_f32_e32 v28, v26
	v_fmac_f32_e32 v27, 0xb2a5705f, v24
	v_sub_f32_e32 v26, v26, v28
	v_add_f32_e32 v26, v26, v27
	v_exp_f32_e32 v26, v26
	v_cvt_i32_f32_e32 v27, v28
	v_cmp_nlt_f32_e64 s[2:3], s26, v24
	v_mov_b32_e32 v28, 0x3ba10414
	v_cmp_lt_f32_e64 vcc, |v23|, 1.0
	v_ldexp_f32 v26, v26, v27
	v_cndmask_b32_e64 v26, 0, v26, s[2:3]
	v_cmp_ngt_f32_e64 s[2:3], s27, v24
	v_cndmask_b32_e64 v24, v14, v26, s[2:3]
	v_mul_f32_e32 v26, v23, v23
	v_mul_f32_e32 v27, v20, v20
	v_fmac_f32_e32 v29, 0xba1345e1, v26
	v_fmac_f32_e32 v28, 0xba1345e1, v27
	v_fma_f32 v29, v26, v29, v15
	v_fma_f32 v28, v27, v28, v15
	;; [unrolled: 1-line block ×7, first 2 shown]
	v_sub_f32_e32 v24, 1.0, v24
	v_fma_f32 v27, v27, v28, v18
	v_fma_f32 v26, |v23|, v26, |v23|
	v_cmp_lt_f32_e64 s[0:1], |v20|, 1.0
	v_sub_f32_e32 v25, 1.0, v25
	v_fma_f32 v27, |v20|, v27, |v20|
	v_cndmask_b32_e32 v24, v24, v26, vcc
	v_cndmask_b32_e64 v25, v25, v27, s[0:1]
	v_bfi_b32 v23, s28, v24, v23
	v_mul_f32_e32 v22, 0.5, v22
	v_bfi_b32 v20, s28, v25, v20
	v_add_f32_e32 v23, 1.0, v23
	v_mul_f32_e32 v21, 0.5, v21
	v_add_f32_e32 v20, 1.0, v20
	v_fma_mixlo_f16 v22, v22, v23, 0
	v_fma_mixhi_f16 v22, v21, v20, 0
	v_add_co_u32_e32 v12, vcc, -2, v12
	s_waitcnt vmcnt(0)
	v_pk_mul_f16 v19, v19, v22
	v_addc_co_u32_e32 v13, vcc, -1, v13, vcc
	global_store_dword v[6:7], v19, off
	v_add_co_u32_e32 v6, vcc, 4, v6
	v_addc_co_u32_e32 v7, vcc, 0, v7, vcc
	v_add_co_u32_e32 v8, vcc, 4, v8
	v_addc_co_u32_e32 v9, vcc, 0, v9, vcc
	;; [unrolled: 2-line block ×3, first 2 shown]
	v_cmp_eq_u64_e32 vcc, 0, v[12:13]
	s_or_b64 s[6:7], vcc, s[6:7]
	s_andn2_b64 exec, exec, s[6:7]
	s_cbranch_execnz .LBB7_3
; %bb.4:
	s_or_b64 exec, exec, s[6:7]
	v_cmp_ne_u64_e32 vcc, v[2:3], v[4:5]
	v_add_co_u32_e64 v0, s[0:1], v4, v0
	v_addc_co_u32_e64 v1, s[0:1], 0, v5, s[0:1]
	s_orn2_b64 s[0:1], vcc, exec
.LBB7_5:
	s_or_b64 exec, exec, s[16:17]
	s_and_b64 exec, exec, s[0:1]
	s_cbranch_execz .LBB7_12
; %bb.6:
	s_add_u32 s6, s10, s14
	s_addc_u32 s2, s11, s15
	s_lshl_b64 s[0:1], s[12:13], 1
	s_add_u32 s7, s6, s0
	s_addc_u32 s3, s2, s1
	s_lshl_b64 s[0:1], s[4:5], 1
	s_add_u32 s4, s8, s0
	s_addc_u32 s21, s9, s1
	v_lshlrev_b64 v[2:3], 1, v[0:1]
	s_lshl_b32 s5, s18, 1
	s_mov_b64 s[0:1], 0
	v_mov_b32_e32 v4, s2
	v_mov_b32_e32 v5, s3
	s_mov_b32 s8, 0x378e98ab
	s_mov_b32 s9, 0x3b7cd369
	s_mov_b32 s10, 0xbcc618b2
	s_mov_b32 s11, 0x3dda74e4
	s_mov_b32 s14, 0x3f228afd
	s_mov_b32 s15, 0x3e03c728
	s_mov_b32 s16, 0xbfb8aa3b
	s_mov_b32 s17, 0x42ce8ed0
	s_mov_b32 s19, 0xc2b17218
	v_mov_b32_e32 v6, 0xbcdac9b8
	v_mov_b32_e32 v7, 0x3de703be
	v_mov_b32_e32 v8, 0xbec09330
	v_mov_b32_e32 v9, 0x3e0375d0
	s_brev_b32 s20, -2
	v_mov_b32_e32 v10, s21
	v_mov_b32_e32 v11, 0xb9c68948
	;; [unrolled: 1-line block ×3, first 2 shown]
	s_branch .LBB7_8
.LBB7_7:                                ;   in Loop: Header=BB7_8 Depth=1
	s_or_b64 exec, exec, s[2:3]
	v_bfi_b32 v15, s20, v16, v15
	v_mul_f32_e32 v14, 0.5, v14
	v_add_f32_e32 v15, 1.0, v15
	v_fma_mixlo_f16 v14, v14, v15, 0
	s_waitcnt vmcnt(0)
	v_mul_f16_e32 v15, v13, v14
	v_add_co_u32_e32 v13, vcc, s4, v2
	v_addc_co_u32_e32 v14, vcc, v10, v3, vcc
	v_add_co_u32_e32 v0, vcc, s18, v0
	v_addc_co_u32_e32 v1, vcc, 0, v1, vcc
	v_cmp_le_i64_e32 vcc, s[12:13], v[0:1]
	global_store_short v[13:14], v15, off
	s_or_b64 s[0:1], vcc, s[0:1]
	v_add_co_u32_e32 v2, vcc, s5, v2
	v_addc_co_u32_e32 v3, vcc, 0, v3, vcc
	s_andn2_b64 exec, exec, s[0:1]
	s_cbranch_execz .LBB7_12
.LBB7_8:                                ; =>This Inner Loop Header: Depth=1
	v_add_co_u32_e32 v13, vcc, s6, v2
	v_addc_co_u32_e32 v14, vcc, v4, v3, vcc
	global_load_ushort v15, v[13:14], off
	v_add_co_u32_e32 v13, vcc, s7, v2
	v_addc_co_u32_e32 v14, vcc, v5, v3, vcc
	global_load_ushort v13, v[13:14], off
                                        ; implicit-def: $vgpr16
	s_waitcnt vmcnt(1)
	v_cvt_f32_f16_e32 v14, v15
	v_mul_f32_e32 v15, 0x3f3504f3, v14
	v_cmp_nlt_f32_e64 s[2:3], |v15|, 1.0
	s_and_saveexec_b64 s[22:23], s[2:3]
	s_xor_b64 s[2:3], exec, s[22:23]
	s_cbranch_execz .LBB7_10
; %bb.9:                                ;   in Loop: Header=BB7_8 Depth=1
	v_fma_f32 v16, |v15|, s8, v11
	v_fma_f32 v16, |v15|, v16, s9
	;; [unrolled: 1-line block ×6, first 2 shown]
	v_fma_f32 v16, |v15|, v16, |v15|
	v_mul_f32_e32 v17, 0xbfb8aa3b, v16
	v_fma_f32 v18, v16, s16, -v17
	v_rndne_f32_e32 v19, v17
	v_fmac_f32_e32 v18, 0xb2a5705f, v16
	v_sub_f32_e32 v17, v17, v19
	v_add_f32_e32 v17, v17, v18
	v_cvt_i32_f32_e32 v18, v19
	v_exp_f32_e32 v17, v17
	v_cmp_nlt_f32_e32 vcc, s17, v16
	v_ldexp_f32 v17, v17, v18
	v_cndmask_b32_e32 v17, 0, v17, vcc
	v_cmp_ngt_f32_e32 vcc, s19, v16
	v_cndmask_b32_e32 v16, v12, v17, vcc
	v_sub_f32_e32 v16, 1.0, v16
.LBB7_10:                               ;   in Loop: Header=BB7_8 Depth=1
	s_andn2_saveexec_b64 s[2:3], s[2:3]
	s_cbranch_execz .LBB7_7
; %bb.11:                               ;   in Loop: Header=BB7_8 Depth=1
	v_mul_f32_e32 v16, v15, v15
	v_mov_b32_e32 v17, 0x3ba10414
	v_fmac_f32_e32 v17, 0xba1345e1, v16
	v_fma_f32 v17, v16, v17, v6
	v_fma_f32 v17, v16, v17, v7
	v_fma_f32 v17, v16, v17, v8
	v_fma_f32 v16, v16, v17, v9
	v_fma_f32 v16, |v15|, v16, |v15|
	s_branch .LBB7_7
.LBB7_12:
	s_endpgm
	.section	.rodata,"a",@progbits
	.p2align	6, 0x0
	.amdhsa_kernel _ZN4vllm18act_and_mul_kernelIN3c104HalfETnPFT_RKS3_EXadL_ZNS_11gelu_kernelIS2_EES3_S5_EELb1EEEvPS3_PS4_i
		.amdhsa_group_segment_fixed_size 0
		.amdhsa_private_segment_fixed_size 0
		.amdhsa_kernarg_size 280
		.amdhsa_user_sgpr_count 6
		.amdhsa_user_sgpr_private_segment_buffer 1
		.amdhsa_user_sgpr_dispatch_ptr 0
		.amdhsa_user_sgpr_queue_ptr 0
		.amdhsa_user_sgpr_kernarg_segment_ptr 1
		.amdhsa_user_sgpr_dispatch_id 0
		.amdhsa_user_sgpr_flat_scratch_init 0
		.amdhsa_user_sgpr_private_segment_size 0
		.amdhsa_uses_dynamic_stack 0
		.amdhsa_system_sgpr_private_segment_wavefront_offset 0
		.amdhsa_system_sgpr_workgroup_id_x 1
		.amdhsa_system_sgpr_workgroup_id_y 0
		.amdhsa_system_sgpr_workgroup_id_z 0
		.amdhsa_system_sgpr_workgroup_info 0
		.amdhsa_system_vgpr_workitem_id 0
		.amdhsa_next_free_vgpr 30
		.amdhsa_next_free_sgpr 29
		.amdhsa_reserve_vcc 1
		.amdhsa_reserve_flat_scratch 0
		.amdhsa_float_round_mode_32 0
		.amdhsa_float_round_mode_16_64 0
		.amdhsa_float_denorm_mode_32 3
		.amdhsa_float_denorm_mode_16_64 3
		.amdhsa_dx10_clamp 1
		.amdhsa_ieee_mode 1
		.amdhsa_fp16_overflow 0
		.amdhsa_exception_fp_ieee_invalid_op 0
		.amdhsa_exception_fp_denorm_src 0
		.amdhsa_exception_fp_ieee_div_zero 0
		.amdhsa_exception_fp_ieee_overflow 0
		.amdhsa_exception_fp_ieee_underflow 0
		.amdhsa_exception_fp_ieee_inexact 0
		.amdhsa_exception_int_div_zero 0
	.end_amdhsa_kernel
	.section	.text._ZN4vllm18act_and_mul_kernelIN3c104HalfETnPFT_RKS3_EXadL_ZNS_11gelu_kernelIS2_EES3_S5_EELb1EEEvPS3_PS4_i,"axG",@progbits,_ZN4vllm18act_and_mul_kernelIN3c104HalfETnPFT_RKS3_EXadL_ZNS_11gelu_kernelIS2_EES3_S5_EELb1EEEvPS3_PS4_i,comdat
.Lfunc_end7:
	.size	_ZN4vllm18act_and_mul_kernelIN3c104HalfETnPFT_RKS3_EXadL_ZNS_11gelu_kernelIS2_EES3_S5_EELb1EEEvPS3_PS4_i, .Lfunc_end7-_ZN4vllm18act_and_mul_kernelIN3c104HalfETnPFT_RKS3_EXadL_ZNS_11gelu_kernelIS2_EES3_S5_EELb1EEEvPS3_PS4_i
                                        ; -- End function
	.set _ZN4vllm18act_and_mul_kernelIN3c104HalfETnPFT_RKS3_EXadL_ZNS_11gelu_kernelIS2_EES3_S5_EELb1EEEvPS3_PS4_i.num_vgpr, 30
	.set _ZN4vllm18act_and_mul_kernelIN3c104HalfETnPFT_RKS3_EXadL_ZNS_11gelu_kernelIS2_EES3_S5_EELb1EEEvPS3_PS4_i.num_agpr, 0
	.set _ZN4vllm18act_and_mul_kernelIN3c104HalfETnPFT_RKS3_EXadL_ZNS_11gelu_kernelIS2_EES3_S5_EELb1EEEvPS3_PS4_i.numbered_sgpr, 29
	.set _ZN4vllm18act_and_mul_kernelIN3c104HalfETnPFT_RKS3_EXadL_ZNS_11gelu_kernelIS2_EES3_S5_EELb1EEEvPS3_PS4_i.num_named_barrier, 0
	.set _ZN4vllm18act_and_mul_kernelIN3c104HalfETnPFT_RKS3_EXadL_ZNS_11gelu_kernelIS2_EES3_S5_EELb1EEEvPS3_PS4_i.private_seg_size, 0
	.set _ZN4vllm18act_and_mul_kernelIN3c104HalfETnPFT_RKS3_EXadL_ZNS_11gelu_kernelIS2_EES3_S5_EELb1EEEvPS3_PS4_i.uses_vcc, 1
	.set _ZN4vllm18act_and_mul_kernelIN3c104HalfETnPFT_RKS3_EXadL_ZNS_11gelu_kernelIS2_EES3_S5_EELb1EEEvPS3_PS4_i.uses_flat_scratch, 0
	.set _ZN4vllm18act_and_mul_kernelIN3c104HalfETnPFT_RKS3_EXadL_ZNS_11gelu_kernelIS2_EES3_S5_EELb1EEEvPS3_PS4_i.has_dyn_sized_stack, 0
	.set _ZN4vllm18act_and_mul_kernelIN3c104HalfETnPFT_RKS3_EXadL_ZNS_11gelu_kernelIS2_EES3_S5_EELb1EEEvPS3_PS4_i.has_recursion, 0
	.set _ZN4vllm18act_and_mul_kernelIN3c104HalfETnPFT_RKS3_EXadL_ZNS_11gelu_kernelIS2_EES3_S5_EELb1EEEvPS3_PS4_i.has_indirect_call, 0
	.section	.AMDGPU.csdata,"",@progbits
; Kernel info:
; codeLenInByte = 1584
; TotalNumSgprs: 33
; NumVgprs: 30
; ScratchSize: 0
; MemoryBound: 0
; FloatMode: 240
; IeeeMode: 1
; LDSByteSize: 0 bytes/workgroup (compile time only)
; SGPRBlocks: 4
; VGPRBlocks: 7
; NumSGPRsForWavesPerEU: 33
; NumVGPRsForWavesPerEU: 30
; Occupancy: 8
; WaveLimiterHint : 0
; COMPUTE_PGM_RSRC2:SCRATCH_EN: 0
; COMPUTE_PGM_RSRC2:USER_SGPR: 6
; COMPUTE_PGM_RSRC2:TRAP_HANDLER: 0
; COMPUTE_PGM_RSRC2:TGID_X_EN: 1
; COMPUTE_PGM_RSRC2:TGID_Y_EN: 0
; COMPUTE_PGM_RSRC2:TGID_Z_EN: 0
; COMPUTE_PGM_RSRC2:TIDIG_COMP_CNT: 0
	.section	.text._ZN4vllm18act_and_mul_kernelIN3c108BFloat16ETnPFT_RKS3_EXadL_ZNS_11gelu_kernelIS2_EES3_S5_EELb1EEEvPS3_PS4_i,"axG",@progbits,_ZN4vllm18act_and_mul_kernelIN3c108BFloat16ETnPFT_RKS3_EXadL_ZNS_11gelu_kernelIS2_EES3_S5_EELb1EEEvPS3_PS4_i,comdat
	.protected	_ZN4vllm18act_and_mul_kernelIN3c108BFloat16ETnPFT_RKS3_EXadL_ZNS_11gelu_kernelIS2_EES3_S5_EELb1EEEvPS3_PS4_i ; -- Begin function _ZN4vllm18act_and_mul_kernelIN3c108BFloat16ETnPFT_RKS3_EXadL_ZNS_11gelu_kernelIS2_EES3_S5_EELb1EEEvPS3_PS4_i
	.globl	_ZN4vllm18act_and_mul_kernelIN3c108BFloat16ETnPFT_RKS3_EXadL_ZNS_11gelu_kernelIS2_EES3_S5_EELb1EEEvPS3_PS4_i
	.p2align	8
	.type	_ZN4vllm18act_and_mul_kernelIN3c108BFloat16ETnPFT_RKS3_EXadL_ZNS_11gelu_kernelIS2_EES3_S5_EELb1EEEvPS3_PS4_i,@function
_ZN4vllm18act_and_mul_kernelIN3c108BFloat16ETnPFT_RKS3_EXadL_ZNS_11gelu_kernelIS2_EES3_S5_EELb1EEEvPS3_PS4_i: ; @_ZN4vllm18act_and_mul_kernelIN3c108BFloat16ETnPFT_RKS3_EXadL_ZNS_11gelu_kernelIS2_EES3_S5_EELb1EEEvPS3_PS4_i
; %bb.0:
	s_load_dword s12, s[4:5], 0x10
	s_waitcnt lgkmcnt(0)
	v_cmp_gt_i32_e32 vcc, s12, v0
	s_and_saveexec_b64 s[0:1], vcc
	s_cbranch_execz .LBB8_12
; %bb.1:
	v_mov_b32_e32 v1, 0
	s_ashr_i32 s13, s12, 31
	v_add_u32_e32 v2, 1, v0
	v_mov_b32_e32 v3, v1
	s_load_dwordx4 s[8:11], s[4:5], 0x0
	s_load_dword s1, s[4:5], 0x24
	v_cmp_lt_i64_e32 vcc, s[12:13], v[2:3]
	v_mov_b32_e32 v4, s13
	v_cndmask_b32_e64 v3, v4, 0, vcc
	v_mov_b32_e32 v4, s12
	s_mul_hi_u32 s0, s6, s12
	s_mul_i32 s2, s6, s13
	v_cndmask_b32_e32 v2, v4, v2, vcc
	s_add_i32 s15, s0, s2
	s_mul_i32 s14, s6, s12
	v_sub_co_u32_e32 v2, vcc, v2, v0
	s_lshl_b64 s[16:17], s[14:15], 2
	s_waitcnt lgkmcnt(0)
	s_and_b32 s22, s1, 0xffff
	v_subbrev_co_u32_e32 v3, vcc, 0, v3, vcc
	v_cmp_lt_u64_e32 vcc, 1, v[2:3]
	s_cmp_eq_u32 s22, 1
	s_cselect_b64 s[0:1], -1, 0
	s_and_b64 s[2:3], vcc, s[0:1]
	s_mov_b64 s[0:1], -1
	s_and_saveexec_b64 s[18:19], s[2:3]
	s_cbranch_execz .LBB8_5
; %bb.2:
	s_lshl_b64 s[0:1], s[14:15], 1
	v_lshlrev_b64 v[10:11], 1, v[0:1]
	s_add_u32 s0, s8, s0
	s_mov_b32 s7, 0
	s_addc_u32 s1, s9, s1
	v_mov_b32_e32 v1, s1
	v_add_co_u32_e32 v6, vcc, s0, v10
	s_lshl_b64 s[0:1], s[6:7], 2
	s_or_b32 s0, s0, 2
	s_mul_i32 s2, s0, s13
	s_mul_hi_u32 s3, s0, s12
	s_add_i32 s2, s3, s2
	s_mul_i32 s1, s1, s12
	s_add_i32 s2, s2, s1
	s_mul_i32 s0, s0, s12
	s_add_u32 s0, s10, s0
	v_addc_co_u32_e32 v7, vcc, v1, v11, vcc
	s_addc_u32 s1, s11, s2
	v_mov_b32_e32 v1, s1
	v_add_co_u32_e32 v8, vcc, s0, v10
	s_add_u32 s0, s10, s16
	v_mov_b32_e32 v5, v3
	v_addc_co_u32_e32 v9, vcc, v1, v11, vcc
	s_addc_u32 s1, s11, s17
	v_and_b32_e32 v4, -2, v2
	v_mov_b32_e32 v1, s1
	v_add_co_u32_e32 v10, vcc, s0, v10
	v_mov_b32_e32 v13, v5
	v_addc_co_u32_e32 v11, vcc, v1, v11, vcc
	s_mov_b64 s[20:21], 0
	s_mov_b32 s23, 0x378e98ab
	v_mov_b32_e32 v1, 0xb9c68948
	s_mov_b32 s24, 0x3b7cd369
	s_mov_b32 s25, 0xbcc618b2
	;; [unrolled: 1-line block ×8, first 2 shown]
	v_mov_b32_e32 v14, 0x7f800000
	v_mov_b32_e32 v15, 0xbcdac9b8
	;; [unrolled: 1-line block ×5, first 2 shown]
	s_brev_b32 s33, -2
	s_movk_i32 s34, 0x7fff
	s_mov_b32 s35, 0x5040100
	v_mov_b32_e32 v19, 1
	v_mov_b32_e32 v20, 0x7fc00000
	;; [unrolled: 1-line block ×4, first 2 shown]
.LBB8_3:                                ; =>This Inner Loop Header: Depth=1
	global_load_dword v23, v[10:11], off
	v_mov_b32_e32 v24, 0x3ba10414
	s_waitcnt vmcnt(0)
	v_and_b32_e32 v22, 0xffff0000, v23
	v_mul_f32_e32 v25, 0x3f3504f3, v22
	v_mul_f32_e32 v26, v25, v25
	v_fmac_f32_e32 v24, 0xba1345e1, v26
	v_fma_f32 v24, v26, v24, v15
	v_fma_f32 v24, v26, v24, v16
	v_lshlrev_b32_e32 v23, 16, v23
	v_fma_f32 v24, v26, v24, v17
	v_mul_f32_e32 v27, 0x3f3504f3, v23
	v_fma_f32 v24, v26, v24, v18
	v_mov_b32_e32 v26, 0x3ba10414
	v_mul_f32_e32 v28, v27, v27
	v_fmac_f32_e32 v26, 0xba1345e1, v28
	v_fma_f32 v26, v28, v26, v15
	v_fma_f32 v26, v28, v26, v16
	;; [unrolled: 1-line block ×4, first 2 shown]
	v_fma_f32 v28, |v25|, s23, v1
	v_fma_f32 v28, |v25|, v28, s24
	;; [unrolled: 1-line block ×6, first 2 shown]
	v_fma_f32 v28, |v25|, v28, |v25|
	v_mul_f32_e32 v29, 0xbfb8aa3b, v28
	v_fma_f32 v30, v28, s29, -v29
	v_cmp_nlt_f32_e32 vcc, s30, v28
	v_cmp_ngt_f32_e64 s[0:1], s31, v28
	v_fmac_f32_e32 v30, 0xb2a5705f, v28
	v_fma_f32 v28, |v27|, s23, v1
	v_fma_f32 v28, |v27|, v28, s24
	;; [unrolled: 1-line block ×6, first 2 shown]
	v_fma_f32 v28, |v27|, v28, |v27|
	v_mul_f32_e32 v31, 0xbfb8aa3b, v28
	v_fma_f32 v32, v28, s29, -v31
	v_cmp_nlt_f32_e64 s[2:3], s30, v28
	v_cmp_ngt_f32_e64 s[4:5], s31, v28
	v_fmac_f32_e32 v32, 0xb2a5705f, v28
	v_rndne_f32_e32 v28, v29
	v_sub_f32_e32 v29, v29, v28
	v_add_f32_e32 v29, v29, v30
	v_cvt_i32_f32_e32 v28, v28
	v_exp_f32_e32 v29, v29
	v_rndne_f32_e32 v30, v31
	v_sub_f32_e32 v31, v31, v30
	v_add_f32_e32 v31, v31, v32
	v_ldexp_f32 v28, v29, v28
	v_cvt_i32_f32_e32 v29, v30
	v_exp_f32_e32 v30, v31
	v_cndmask_b32_e32 v28, 0, v28, vcc
	v_cndmask_b32_e64 v28, v14, v28, s[0:1]
	v_cmp_lt_f32_e64 s[6:7], |v25|, 1.0
	v_ldexp_f32 v29, v30, v29
	v_fma_f32 v24, |v25|, v24, |v25|
	v_sub_f32_e32 v28, 1.0, v28
	v_cndmask_b32_e64 v24, v28, v24, s[6:7]
	v_cndmask_b32_e64 v28, 0, v29, s[2:3]
	;; [unrolled: 1-line block ×3, first 2 shown]
	v_cmp_lt_f32_e64 vcc, |v27|, 1.0
	v_fma_f32 v26, |v27|, v26, |v27|
	v_sub_f32_e32 v28, 1.0, v28
	v_cndmask_b32_e32 v26, v28, v26, vcc
	v_bfi_b32 v26, s33, v26, v27
	v_bfi_b32 v24, s33, v24, v25
	v_mul_f32_e32 v23, 0.5, v23
	v_add_f32_e32 v25, 1.0, v26
	v_mul_f32_e32 v23, v23, v25
	global_load_dword v25, v[8:9], off
	v_add_co_u32_e32 v12, vcc, -2, v12
	v_add_co_u32_e64 v8, s[0:1], 4, v8
	v_add_co_u32_e64 v10, s[2:3], 4, v10
	v_addc_co_u32_e32 v13, vcc, -1, v13, vcc
	v_addc_co_u32_e64 v9, vcc, 0, v9, s[0:1]
	v_addc_co_u32_e64 v11, vcc, 0, v11, s[2:3]
	v_mul_f32_e32 v22, 0.5, v22
	v_add_f32_e32 v24, 1.0, v24
	v_cmp_eq_u64_e32 vcc, 0, v[12:13]
	v_mul_f32_e32 v22, v22, v24
	v_and_b32_sdwa v24, v22, v19 dst_sel:DWORD dst_unused:UNUSED_PAD src0_sel:WORD_1 src1_sel:DWORD
	s_or_b64 s[20:21], vcc, s[20:21]
	v_cmp_o_f32_e32 vcc, v22, v22
	v_add3_u32 v22, v22, v24, s34
	v_and_b32_sdwa v24, v23, v19 dst_sel:DWORD dst_unused:UNUSED_PAD src0_sel:WORD_1 src1_sel:DWORD
	v_cmp_o_f32_e64 s[0:1], v23, v23
	v_add3_u32 v23, v23, v24, s34
	v_and_b32_e32 v22, 0xffff0000, v22
	v_and_b32_e32 v23, 0xffff0000, v23
	v_cndmask_b32_e64 v23, v20, v23, s[0:1]
	v_cndmask_b32_e32 v22, v20, v22, vcc
	s_waitcnt vmcnt(0)
	v_lshlrev_b32_e32 v24, 16, v25
	v_and_b32_e32 v25, 0xffff0000, v25
	v_mul_f32_e32 v23, v23, v24
	v_mul_f32_e32 v22, v22, v25
	v_and_b32_sdwa v24, v22, v19 dst_sel:DWORD dst_unused:UNUSED_PAD src0_sel:WORD_1 src1_sel:DWORD
	v_and_b32_sdwa v25, v23, v19 dst_sel:DWORD dst_unused:UNUSED_PAD src0_sel:WORD_1 src1_sel:DWORD
	v_cmp_o_f32_e32 vcc, v22, v22
	v_cmp_o_f32_e64 s[0:1], v23, v23
	v_add3_u32 v22, v22, v24, s34
	v_add3_u32 v23, v23, v25, s34
	v_lshrrev_b32_e32 v22, 16, v22
	v_lshrrev_b32_e32 v23, 16, v23
	v_cndmask_b32_e64 v23, v21, v23, s[0:1]
	v_cndmask_b32_e32 v22, v21, v22, vcc
	v_perm_b32 v22, v22, v23, s35
	global_store_dword v[6:7], v22, off
	v_add_co_u32_e32 v6, vcc, 4, v6
	v_addc_co_u32_e32 v7, vcc, 0, v7, vcc
	s_andn2_b64 exec, exec, s[20:21]
	s_cbranch_execnz .LBB8_3
; %bb.4:
	s_or_b64 exec, exec, s[20:21]
	v_cmp_ne_u64_e32 vcc, v[2:3], v[4:5]
	v_add_co_u32_e64 v0, s[0:1], v4, v0
	v_addc_co_u32_e64 v1, s[0:1], 0, v5, s[0:1]
	s_orn2_b64 s[0:1], vcc, exec
.LBB8_5:
	s_or_b64 exec, exec, s[18:19]
	s_and_b64 exec, exec, s[0:1]
	s_cbranch_execz .LBB8_12
; %bb.6:
	s_add_u32 s4, s10, s16
	s_addc_u32 s2, s11, s17
	s_lshl_b64 s[0:1], s[12:13], 1
	s_add_u32 s5, s4, s0
	s_addc_u32 s3, s2, s1
	s_lshl_b64 s[0:1], s[14:15], 1
	s_add_u32 s6, s8, s0
	s_addc_u32 s21, s9, s1
	v_lshlrev_b64 v[2:3], 1, v[0:1]
	s_lshl_b32 s7, s22, 1
	s_mov_b64 s[0:1], 0
	v_mov_b32_e32 v4, s2
	v_mov_b32_e32 v5, s3
	s_mov_b32 s8, 0x378e98ab
	s_mov_b32 s9, 0x3b7cd369
	;; [unrolled: 1-line block ×9, first 2 shown]
	v_mov_b32_e32 v6, 0xbcdac9b8
	v_mov_b32_e32 v7, 0x3de703be
	;; [unrolled: 1-line block ×4, first 2 shown]
	s_brev_b32 s19, -2
	s_movk_i32 s20, 0x7fff
	v_mov_b32_e32 v10, 0x7fc00000
	v_mov_b32_e32 v11, 0x7fc0
	;; [unrolled: 1-line block ×5, first 2 shown]
	s_branch .LBB8_8
.LBB8_7:                                ;   in Loop: Header=BB8_8 Depth=1
	s_or_b64 exec, exec, s[2:3]
	v_bfi_b32 v17, s19, v18, v17
	v_mul_f32_e32 v16, 0.5, v16
	v_add_f32_e32 v17, 1.0, v17
	v_mul_f32_e32 v16, v16, v17
	v_bfe_u32 v17, v16, 16, 1
	v_add3_u32 v17, v16, v17, s20
	v_and_b32_e32 v17, 0xffff0000, v17
	v_cmp_o_f32_e32 vcc, v16, v16
	v_cndmask_b32_e32 v16, v10, v17, vcc
	s_waitcnt vmcnt(0)
	v_lshlrev_b32_e32 v15, 16, v15
	v_mul_f32_e32 v15, v16, v15
	v_bfe_u32 v16, v15, 16, 1
	v_add3_u32 v16, v15, v16, s20
	v_lshrrev_b32_e32 v16, 16, v16
	v_cmp_o_f32_e32 vcc, v15, v15
	v_cndmask_b32_e32 v17, v11, v16, vcc
	v_add_co_u32_e32 v15, vcc, s6, v2
	v_addc_co_u32_e32 v16, vcc, v12, v3, vcc
	v_add_co_u32_e32 v0, vcc, s22, v0
	v_addc_co_u32_e32 v1, vcc, 0, v1, vcc
	v_cmp_le_i64_e32 vcc, s[12:13], v[0:1]
	global_store_short v[15:16], v17, off
	s_or_b64 s[0:1], vcc, s[0:1]
	v_add_co_u32_e32 v2, vcc, s7, v2
	v_addc_co_u32_e32 v3, vcc, 0, v3, vcc
	s_andn2_b64 exec, exec, s[0:1]
	s_cbranch_execz .LBB8_12
.LBB8_8:                                ; =>This Inner Loop Header: Depth=1
	v_add_co_u32_e32 v15, vcc, s4, v2
	v_addc_co_u32_e32 v16, vcc, v4, v3, vcc
	global_load_ushort v17, v[15:16], off
	v_add_co_u32_e32 v15, vcc, s5, v2
	v_addc_co_u32_e32 v16, vcc, v5, v3, vcc
	global_load_ushort v15, v[15:16], off
                                        ; implicit-def: $vgpr18
	s_waitcnt vmcnt(1)
	v_lshlrev_b32_e32 v16, 16, v17
	v_mul_f32_e32 v17, 0x3f3504f3, v16
	v_cmp_nlt_f32_e64 s[2:3], |v17|, 1.0
	s_and_saveexec_b64 s[24:25], s[2:3]
	s_xor_b64 s[2:3], exec, s[24:25]
	s_cbranch_execz .LBB8_10
; %bb.9:                                ;   in Loop: Header=BB8_8 Depth=1
	v_fma_f32 v18, |v17|, s8, v13
	v_fma_f32 v18, |v17|, v18, s9
	;; [unrolled: 1-line block ×6, first 2 shown]
	v_fma_f32 v18, |v17|, v18, |v17|
	v_mul_f32_e32 v19, 0xbfb8aa3b, v18
	v_fma_f32 v20, v18, s16, -v19
	v_rndne_f32_e32 v21, v19
	v_fmac_f32_e32 v20, 0xb2a5705f, v18
	v_sub_f32_e32 v19, v19, v21
	v_add_f32_e32 v19, v19, v20
	v_cvt_i32_f32_e32 v20, v21
	v_exp_f32_e32 v19, v19
	v_cmp_nlt_f32_e32 vcc, s17, v18
	v_ldexp_f32 v19, v19, v20
	v_cndmask_b32_e32 v19, 0, v19, vcc
	v_cmp_ngt_f32_e32 vcc, s18, v18
	v_cndmask_b32_e32 v18, v14, v19, vcc
	v_sub_f32_e32 v18, 1.0, v18
.LBB8_10:                               ;   in Loop: Header=BB8_8 Depth=1
	s_andn2_saveexec_b64 s[2:3], s[2:3]
	s_cbranch_execz .LBB8_7
; %bb.11:                               ;   in Loop: Header=BB8_8 Depth=1
	v_mul_f32_e32 v18, v17, v17
	v_mov_b32_e32 v19, 0x3ba10414
	v_fmac_f32_e32 v19, 0xba1345e1, v18
	v_fma_f32 v19, v18, v19, v6
	v_fma_f32 v19, v18, v19, v7
	;; [unrolled: 1-line block ×4, first 2 shown]
	v_fma_f32 v18, |v17|, v18, |v17|
	s_branch .LBB8_7
.LBB8_12:
	s_endpgm
	.section	.rodata,"a",@progbits
	.p2align	6, 0x0
	.amdhsa_kernel _ZN4vllm18act_and_mul_kernelIN3c108BFloat16ETnPFT_RKS3_EXadL_ZNS_11gelu_kernelIS2_EES3_S5_EELb1EEEvPS3_PS4_i
		.amdhsa_group_segment_fixed_size 0
		.amdhsa_private_segment_fixed_size 0
		.amdhsa_kernarg_size 280
		.amdhsa_user_sgpr_count 6
		.amdhsa_user_sgpr_private_segment_buffer 1
		.amdhsa_user_sgpr_dispatch_ptr 0
		.amdhsa_user_sgpr_queue_ptr 0
		.amdhsa_user_sgpr_kernarg_segment_ptr 1
		.amdhsa_user_sgpr_dispatch_id 0
		.amdhsa_user_sgpr_flat_scratch_init 0
		.amdhsa_user_sgpr_private_segment_size 0
		.amdhsa_uses_dynamic_stack 0
		.amdhsa_system_sgpr_private_segment_wavefront_offset 0
		.amdhsa_system_sgpr_workgroup_id_x 1
		.amdhsa_system_sgpr_workgroup_id_y 0
		.amdhsa_system_sgpr_workgroup_id_z 0
		.amdhsa_system_sgpr_workgroup_info 0
		.amdhsa_system_vgpr_workitem_id 0
		.amdhsa_next_free_vgpr 33
		.amdhsa_next_free_sgpr 36
		.amdhsa_reserve_vcc 1
		.amdhsa_reserve_flat_scratch 0
		.amdhsa_float_round_mode_32 0
		.amdhsa_float_round_mode_16_64 0
		.amdhsa_float_denorm_mode_32 3
		.amdhsa_float_denorm_mode_16_64 3
		.amdhsa_dx10_clamp 1
		.amdhsa_ieee_mode 1
		.amdhsa_fp16_overflow 0
		.amdhsa_exception_fp_ieee_invalid_op 0
		.amdhsa_exception_fp_denorm_src 0
		.amdhsa_exception_fp_ieee_div_zero 0
		.amdhsa_exception_fp_ieee_overflow 0
		.amdhsa_exception_fp_ieee_underflow 0
		.amdhsa_exception_fp_ieee_inexact 0
		.amdhsa_exception_int_div_zero 0
	.end_amdhsa_kernel
	.section	.text._ZN4vllm18act_and_mul_kernelIN3c108BFloat16ETnPFT_RKS3_EXadL_ZNS_11gelu_kernelIS2_EES3_S5_EELb1EEEvPS3_PS4_i,"axG",@progbits,_ZN4vllm18act_and_mul_kernelIN3c108BFloat16ETnPFT_RKS3_EXadL_ZNS_11gelu_kernelIS2_EES3_S5_EELb1EEEvPS3_PS4_i,comdat
.Lfunc_end8:
	.size	_ZN4vllm18act_and_mul_kernelIN3c108BFloat16ETnPFT_RKS3_EXadL_ZNS_11gelu_kernelIS2_EES3_S5_EELb1EEEvPS3_PS4_i, .Lfunc_end8-_ZN4vllm18act_and_mul_kernelIN3c108BFloat16ETnPFT_RKS3_EXadL_ZNS_11gelu_kernelIS2_EES3_S5_EELb1EEEvPS3_PS4_i
                                        ; -- End function
	.set _ZN4vllm18act_and_mul_kernelIN3c108BFloat16ETnPFT_RKS3_EXadL_ZNS_11gelu_kernelIS2_EES3_S5_EELb1EEEvPS3_PS4_i.num_vgpr, 33
	.set _ZN4vllm18act_and_mul_kernelIN3c108BFloat16ETnPFT_RKS3_EXadL_ZNS_11gelu_kernelIS2_EES3_S5_EELb1EEEvPS3_PS4_i.num_agpr, 0
	.set _ZN4vllm18act_and_mul_kernelIN3c108BFloat16ETnPFT_RKS3_EXadL_ZNS_11gelu_kernelIS2_EES3_S5_EELb1EEEvPS3_PS4_i.numbered_sgpr, 36
	.set _ZN4vllm18act_and_mul_kernelIN3c108BFloat16ETnPFT_RKS3_EXadL_ZNS_11gelu_kernelIS2_EES3_S5_EELb1EEEvPS3_PS4_i.num_named_barrier, 0
	.set _ZN4vllm18act_and_mul_kernelIN3c108BFloat16ETnPFT_RKS3_EXadL_ZNS_11gelu_kernelIS2_EES3_S5_EELb1EEEvPS3_PS4_i.private_seg_size, 0
	.set _ZN4vllm18act_and_mul_kernelIN3c108BFloat16ETnPFT_RKS3_EXadL_ZNS_11gelu_kernelIS2_EES3_S5_EELb1EEEvPS3_PS4_i.uses_vcc, 1
	.set _ZN4vllm18act_and_mul_kernelIN3c108BFloat16ETnPFT_RKS3_EXadL_ZNS_11gelu_kernelIS2_EES3_S5_EELb1EEEvPS3_PS4_i.uses_flat_scratch, 0
	.set _ZN4vllm18act_and_mul_kernelIN3c108BFloat16ETnPFT_RKS3_EXadL_ZNS_11gelu_kernelIS2_EES3_S5_EELb1EEEvPS3_PS4_i.has_dyn_sized_stack, 0
	.set _ZN4vllm18act_and_mul_kernelIN3c108BFloat16ETnPFT_RKS3_EXadL_ZNS_11gelu_kernelIS2_EES3_S5_EELb1EEEvPS3_PS4_i.has_recursion, 0
	.set _ZN4vllm18act_and_mul_kernelIN3c108BFloat16ETnPFT_RKS3_EXadL_ZNS_11gelu_kernelIS2_EES3_S5_EELb1EEEvPS3_PS4_i.has_indirect_call, 0
	.section	.AMDGPU.csdata,"",@progbits
; Kernel info:
; codeLenInByte = 1852
; TotalNumSgprs: 40
; NumVgprs: 33
; ScratchSize: 0
; MemoryBound: 0
; FloatMode: 240
; IeeeMode: 1
; LDSByteSize: 0 bytes/workgroup (compile time only)
; SGPRBlocks: 4
; VGPRBlocks: 8
; NumSGPRsForWavesPerEU: 40
; NumVGPRsForWavesPerEU: 33
; Occupancy: 7
; WaveLimiterHint : 0
; COMPUTE_PGM_RSRC2:SCRATCH_EN: 0
; COMPUTE_PGM_RSRC2:USER_SGPR: 6
; COMPUTE_PGM_RSRC2:TRAP_HANDLER: 0
; COMPUTE_PGM_RSRC2:TGID_X_EN: 1
; COMPUTE_PGM_RSRC2:TGID_Y_EN: 0
; COMPUTE_PGM_RSRC2:TGID_Z_EN: 0
; COMPUTE_PGM_RSRC2:TIDIG_COMP_CNT: 0
	.section	.text._ZN4vllm18act_and_mul_kernelIfTnPFT_RKS1_EXadL_ZNS_16gelu_tanh_kernelIfEES1_S3_EELb1EEEvPS1_PS2_i,"axG",@progbits,_ZN4vllm18act_and_mul_kernelIfTnPFT_RKS1_EXadL_ZNS_16gelu_tanh_kernelIfEES1_S3_EELb1EEEvPS1_PS2_i,comdat
	.protected	_ZN4vllm18act_and_mul_kernelIfTnPFT_RKS1_EXadL_ZNS_16gelu_tanh_kernelIfEES1_S3_EELb1EEEvPS1_PS2_i ; -- Begin function _ZN4vllm18act_and_mul_kernelIfTnPFT_RKS1_EXadL_ZNS_16gelu_tanh_kernelIfEES1_S3_EELb1EEEvPS1_PS2_i
	.globl	_ZN4vllm18act_and_mul_kernelIfTnPFT_RKS1_EXadL_ZNS_16gelu_tanh_kernelIfEES1_S3_EELb1EEEvPS1_PS2_i
	.p2align	8
	.type	_ZN4vllm18act_and_mul_kernelIfTnPFT_RKS1_EXadL_ZNS_16gelu_tanh_kernelIfEES1_S3_EELb1EEEvPS1_PS2_i,@function
_ZN4vllm18act_and_mul_kernelIfTnPFT_RKS1_EXadL_ZNS_16gelu_tanh_kernelIfEES1_S3_EELb1EEEvPS1_PS2_i: ; @_ZN4vllm18act_and_mul_kernelIfTnPFT_RKS1_EXadL_ZNS_16gelu_tanh_kernelIfEES1_S3_EELb1EEEvPS1_PS2_i
; %bb.0:
	s_load_dword s0, s[4:5], 0x10
	s_waitcnt lgkmcnt(0)
	v_cmp_gt_i32_e32 vcc, s0, v0
	s_and_saveexec_b64 s[2:3], vcc
	s_cbranch_execz .LBB9_7
; %bb.1:
	s_load_dwordx4 s[8:11], s[4:5], 0x0
	s_load_dword s12, s[4:5], 0x24
	s_ashr_i32 s1, s0, 31
	s_mul_hi_u32 s2, s6, s0
	s_mul_i32 s3, s6, s1
	s_add_i32 s3, s2, s3
	s_mul_i32 s2, s6, s0
	s_lshl_b64 s[6:7], s[2:3], 3
	s_waitcnt lgkmcnt(0)
	s_add_u32 s6, s10, s6
	s_addc_u32 s11, s11, s7
	s_lshl_b64 s[4:5], s[0:1], 2
	s_add_u32 s7, s6, s4
	s_addc_u32 s4, s11, s5
	s_lshl_b64 s[2:3], s[2:3], 2
	s_add_u32 s8, s8, s2
	v_mov_b32_e32 v1, 0
	s_addc_u32 s5, s9, s3
	s_and_b32 s9, s12, 0xffff
	v_lshlrev_b32_e32 v2, 2, v0
	v_mov_b32_e32 v3, v1
	s_lshl_b32 s10, s9, 2
	s_mov_b64 s[2:3], 0
	v_mov_b32_e32 v4, s11
	v_mov_b32_e32 v5, s4
	s_mov_b32 s11, 0x3f200000
	s_mov_b32 s12, 0x3fb8aa3b
	;; [unrolled: 1-line block ×4, first 2 shown]
	v_mov_b32_e32 v6, 0xbd5c1c4e
	v_mov_b32_e32 v7, 0x3e088382
	;; [unrolled: 1-line block ×3, first 2 shown]
	s_brev_b32 s15, -2
	v_mov_b32_e32 v9, s5
	v_mov_b32_e32 v10, 0x7f800000
	s_branch .LBB9_3
.LBB9_2:                                ;   in Loop: Header=BB9_3 Depth=1
	s_or_b64 exec, exec, s[4:5]
	v_bfi_b32 v13, s15, v14, v13
	v_mul_f32_e32 v11, 0.5, v11
	v_add_f32_e32 v13, 1.0, v13
	v_mul_f32_e32 v11, v11, v13
	s_waitcnt vmcnt(0)
	v_mul_f32_e32 v13, v12, v11
	v_add_co_u32_e32 v11, vcc, s8, v2
	v_addc_co_u32_e32 v12, vcc, v9, v3, vcc
	v_add_co_u32_e32 v0, vcc, s9, v0
	v_addc_co_u32_e32 v1, vcc, 0, v1, vcc
	v_cmp_le_i64_e32 vcc, s[0:1], v[0:1]
	global_store_dword v[11:12], v13, off
	s_or_b64 s[2:3], vcc, s[2:3]
	v_add_co_u32_e32 v2, vcc, s10, v2
	v_addc_co_u32_e32 v3, vcc, 0, v3, vcc
	s_andn2_b64 exec, exec, s[2:3]
	s_cbranch_execz .LBB9_7
.LBB9_3:                                ; =>This Inner Loop Header: Depth=1
	v_add_co_u32_e32 v11, vcc, s6, v2
	v_addc_co_u32_e32 v12, vcc, v4, v3, vcc
	global_load_dword v11, v[11:12], off
	v_add_co_u32_e32 v12, vcc, s7, v2
	v_addc_co_u32_e32 v13, vcc, v5, v3, vcc
	global_load_dword v12, v[12:13], off
	s_waitcnt vmcnt(1)
	v_mul_f32_e32 v13, v11, v11
	v_mul_f32_e32 v13, v11, v13
	v_mov_b32_e32 v14, v11
	v_fmac_f32_e32 v14, 0x3d372713, v13
	v_mul_f32_e32 v13, 0x3f4c422a, v14
	v_cmp_nlt_f32_e64 s[4:5], |v13|, s11
                                        ; implicit-def: $vgpr14
	s_and_saveexec_b64 s[16:17], s[4:5]
	s_xor_b64 s[4:5], exec, s[16:17]
	s_cbranch_execz .LBB9_5
; %bb.4:                                ;   in Loop: Header=BB9_3 Depth=1
	v_add_f32_e64 v14, |v13|, |v13|
	v_mul_f32_e32 v15, 0x3fb8aa3b, v14
	v_rndne_f32_e32 v16, v15
	v_sub_f32_e32 v17, v15, v16
	v_fma_f32 v15, v14, s12, -v15
	v_fmac_f32_e32 v15, 0x32a5705f, v14
	v_add_f32_e32 v15, v17, v15
	v_cvt_i32_f32_e32 v16, v16
	v_exp_f32_e32 v15, v15
	v_cmp_ngt_f32_e32 vcc, s13, v14
	v_ldexp_f32 v15, v15, v16
	v_cndmask_b32_e32 v15, 0, v15, vcc
	v_cmp_nlt_f32_e32 vcc, s14, v14
	v_cndmask_b32_e32 v14, v10, v15, vcc
	v_add_f32_e32 v14, 1.0, v14
	v_rcp_f32_e32 v14, v14
	v_fma_f32 v14, v14, -2.0, 1.0
.LBB9_5:                                ;   in Loop: Header=BB9_3 Depth=1
	s_andn2_saveexec_b64 s[4:5], s[4:5]
	s_cbranch_execz .LBB9_2
; %bb.6:                                ;   in Loop: Header=BB9_3 Depth=1
	v_mul_f32_e32 v14, v13, v13
	v_mov_b32_e32 v15, 0x3ca908c9
	v_fmac_f32_e32 v15, 0xbbbac73d, v14
	v_fma_f32 v15, v14, v15, v6
	v_fma_f32 v15, v14, v15, v7
	;; [unrolled: 1-line block ×3, first 2 shown]
	v_mul_f32_e64 v15, |v13|, v15
	v_fma_f32 v14, v14, v15, |v13|
	s_branch .LBB9_2
.LBB9_7:
	s_endpgm
	.section	.rodata,"a",@progbits
	.p2align	6, 0x0
	.amdhsa_kernel _ZN4vllm18act_and_mul_kernelIfTnPFT_RKS1_EXadL_ZNS_16gelu_tanh_kernelIfEES1_S3_EELb1EEEvPS1_PS2_i
		.amdhsa_group_segment_fixed_size 0
		.amdhsa_private_segment_fixed_size 0
		.amdhsa_kernarg_size 280
		.amdhsa_user_sgpr_count 6
		.amdhsa_user_sgpr_private_segment_buffer 1
		.amdhsa_user_sgpr_dispatch_ptr 0
		.amdhsa_user_sgpr_queue_ptr 0
		.amdhsa_user_sgpr_kernarg_segment_ptr 1
		.amdhsa_user_sgpr_dispatch_id 0
		.amdhsa_user_sgpr_flat_scratch_init 0
		.amdhsa_user_sgpr_private_segment_size 0
		.amdhsa_uses_dynamic_stack 0
		.amdhsa_system_sgpr_private_segment_wavefront_offset 0
		.amdhsa_system_sgpr_workgroup_id_x 1
		.amdhsa_system_sgpr_workgroup_id_y 0
		.amdhsa_system_sgpr_workgroup_id_z 0
		.amdhsa_system_sgpr_workgroup_info 0
		.amdhsa_system_vgpr_workitem_id 0
		.amdhsa_next_free_vgpr 18
		.amdhsa_next_free_sgpr 18
		.amdhsa_reserve_vcc 1
		.amdhsa_reserve_flat_scratch 0
		.amdhsa_float_round_mode_32 0
		.amdhsa_float_round_mode_16_64 0
		.amdhsa_float_denorm_mode_32 3
		.amdhsa_float_denorm_mode_16_64 3
		.amdhsa_dx10_clamp 1
		.amdhsa_ieee_mode 1
		.amdhsa_fp16_overflow 0
		.amdhsa_exception_fp_ieee_invalid_op 0
		.amdhsa_exception_fp_denorm_src 0
		.amdhsa_exception_fp_ieee_div_zero 0
		.amdhsa_exception_fp_ieee_overflow 0
		.amdhsa_exception_fp_ieee_underflow 0
		.amdhsa_exception_fp_ieee_inexact 0
		.amdhsa_exception_int_div_zero 0
	.end_amdhsa_kernel
	.section	.text._ZN4vllm18act_and_mul_kernelIfTnPFT_RKS1_EXadL_ZNS_16gelu_tanh_kernelIfEES1_S3_EELb1EEEvPS1_PS2_i,"axG",@progbits,_ZN4vllm18act_and_mul_kernelIfTnPFT_RKS1_EXadL_ZNS_16gelu_tanh_kernelIfEES1_S3_EELb1EEEvPS1_PS2_i,comdat
.Lfunc_end9:
	.size	_ZN4vllm18act_and_mul_kernelIfTnPFT_RKS1_EXadL_ZNS_16gelu_tanh_kernelIfEES1_S3_EELb1EEEvPS1_PS2_i, .Lfunc_end9-_ZN4vllm18act_and_mul_kernelIfTnPFT_RKS1_EXadL_ZNS_16gelu_tanh_kernelIfEES1_S3_EELb1EEEvPS1_PS2_i
                                        ; -- End function
	.set _ZN4vllm18act_and_mul_kernelIfTnPFT_RKS1_EXadL_ZNS_16gelu_tanh_kernelIfEES1_S3_EELb1EEEvPS1_PS2_i.num_vgpr, 18
	.set _ZN4vllm18act_and_mul_kernelIfTnPFT_RKS1_EXadL_ZNS_16gelu_tanh_kernelIfEES1_S3_EELb1EEEvPS1_PS2_i.num_agpr, 0
	.set _ZN4vllm18act_and_mul_kernelIfTnPFT_RKS1_EXadL_ZNS_16gelu_tanh_kernelIfEES1_S3_EELb1EEEvPS1_PS2_i.numbered_sgpr, 18
	.set _ZN4vllm18act_and_mul_kernelIfTnPFT_RKS1_EXadL_ZNS_16gelu_tanh_kernelIfEES1_S3_EELb1EEEvPS1_PS2_i.num_named_barrier, 0
	.set _ZN4vllm18act_and_mul_kernelIfTnPFT_RKS1_EXadL_ZNS_16gelu_tanh_kernelIfEES1_S3_EELb1EEEvPS1_PS2_i.private_seg_size, 0
	.set _ZN4vllm18act_and_mul_kernelIfTnPFT_RKS1_EXadL_ZNS_16gelu_tanh_kernelIfEES1_S3_EELb1EEEvPS1_PS2_i.uses_vcc, 1
	.set _ZN4vllm18act_and_mul_kernelIfTnPFT_RKS1_EXadL_ZNS_16gelu_tanh_kernelIfEES1_S3_EELb1EEEvPS1_PS2_i.uses_flat_scratch, 0
	.set _ZN4vllm18act_and_mul_kernelIfTnPFT_RKS1_EXadL_ZNS_16gelu_tanh_kernelIfEES1_S3_EELb1EEEvPS1_PS2_i.has_dyn_sized_stack, 0
	.set _ZN4vllm18act_and_mul_kernelIfTnPFT_RKS1_EXadL_ZNS_16gelu_tanh_kernelIfEES1_S3_EELb1EEEvPS1_PS2_i.has_recursion, 0
	.set _ZN4vllm18act_and_mul_kernelIfTnPFT_RKS1_EXadL_ZNS_16gelu_tanh_kernelIfEES1_S3_EELb1EEEvPS1_PS2_i.has_indirect_call, 0
	.section	.AMDGPU.csdata,"",@progbits
; Kernel info:
; codeLenInByte = 544
; TotalNumSgprs: 22
; NumVgprs: 18
; ScratchSize: 0
; MemoryBound: 0
; FloatMode: 240
; IeeeMode: 1
; LDSByteSize: 0 bytes/workgroup (compile time only)
; SGPRBlocks: 2
; VGPRBlocks: 4
; NumSGPRsForWavesPerEU: 22
; NumVGPRsForWavesPerEU: 18
; Occupancy: 10
; WaveLimiterHint : 0
; COMPUTE_PGM_RSRC2:SCRATCH_EN: 0
; COMPUTE_PGM_RSRC2:USER_SGPR: 6
; COMPUTE_PGM_RSRC2:TRAP_HANDLER: 0
; COMPUTE_PGM_RSRC2:TGID_X_EN: 1
; COMPUTE_PGM_RSRC2:TGID_Y_EN: 0
; COMPUTE_PGM_RSRC2:TGID_Z_EN: 0
; COMPUTE_PGM_RSRC2:TIDIG_COMP_CNT: 0
	.section	.text._ZN4vllm18act_and_mul_kernelIN3c104HalfETnPFT_RKS3_EXadL_ZNS_16gelu_tanh_kernelIS2_EES3_S5_EELb1EEEvPS3_PS4_i,"axG",@progbits,_ZN4vllm18act_and_mul_kernelIN3c104HalfETnPFT_RKS3_EXadL_ZNS_16gelu_tanh_kernelIS2_EES3_S5_EELb1EEEvPS3_PS4_i,comdat
	.protected	_ZN4vllm18act_and_mul_kernelIN3c104HalfETnPFT_RKS3_EXadL_ZNS_16gelu_tanh_kernelIS2_EES3_S5_EELb1EEEvPS3_PS4_i ; -- Begin function _ZN4vllm18act_and_mul_kernelIN3c104HalfETnPFT_RKS3_EXadL_ZNS_16gelu_tanh_kernelIS2_EES3_S5_EELb1EEEvPS3_PS4_i
	.globl	_ZN4vllm18act_and_mul_kernelIN3c104HalfETnPFT_RKS3_EXadL_ZNS_16gelu_tanh_kernelIS2_EES3_S5_EELb1EEEvPS3_PS4_i
	.p2align	8
	.type	_ZN4vllm18act_and_mul_kernelIN3c104HalfETnPFT_RKS3_EXadL_ZNS_16gelu_tanh_kernelIS2_EES3_S5_EELb1EEEvPS3_PS4_i,@function
_ZN4vllm18act_and_mul_kernelIN3c104HalfETnPFT_RKS3_EXadL_ZNS_16gelu_tanh_kernelIS2_EES3_S5_EELb1EEEvPS3_PS4_i: ; @_ZN4vllm18act_and_mul_kernelIN3c104HalfETnPFT_RKS3_EXadL_ZNS_16gelu_tanh_kernelIS2_EES3_S5_EELb1EEEvPS3_PS4_i
; %bb.0:
	s_load_dword s0, s[4:5], 0x10
	s_waitcnt lgkmcnt(0)
	v_cmp_gt_i32_e32 vcc, s0, v0
	s_and_saveexec_b64 s[2:3], vcc
	s_cbranch_execz .LBB10_7
; %bb.1:
	s_load_dwordx4 s[8:11], s[4:5], 0x0
	s_load_dword s12, s[4:5], 0x24
	s_ashr_i32 s1, s0, 31
	s_mul_hi_u32 s2, s6, s0
	s_mul_i32 s3, s6, s1
	s_add_i32 s3, s2, s3
	s_mul_i32 s2, s6, s0
	s_lshl_b64 s[6:7], s[2:3], 2
	s_waitcnt lgkmcnt(0)
	s_add_u32 s6, s10, s6
	s_addc_u32 s11, s11, s7
	s_lshl_b64 s[4:5], s[0:1], 1
	s_add_u32 s7, s6, s4
	s_addc_u32 s4, s11, s5
	s_lshl_b64 s[2:3], s[2:3], 1
	s_add_u32 s8, s8, s2
	v_mov_b32_e32 v1, 0
	s_addc_u32 s5, s9, s3
	s_and_b32 s9, s12, 0xffff
	v_lshlrev_b32_e32 v2, 1, v0
	v_mov_b32_e32 v3, v1
	s_lshl_b32 s10, s9, 1
	s_mov_b64 s[2:3], 0
	v_mov_b32_e32 v4, s11
	v_mov_b32_e32 v5, s4
	s_mov_b32 s11, 0x3d372713
	s_mov_b32 s12, 0x3f200000
	;; [unrolled: 1-line block ×5, first 2 shown]
	v_mov_b32_e32 v6, 0xbd5c1c4e
	v_mov_b32_e32 v7, 0x3e088382
	;; [unrolled: 1-line block ×3, first 2 shown]
	s_brev_b32 s16, -2
	v_mov_b32_e32 v9, s5
	v_mov_b32_e32 v10, 0x7f800000
	s_branch .LBB10_3
.LBB10_2:                               ;   in Loop: Header=BB10_3 Depth=1
	s_or_b64 exec, exec, s[4:5]
	v_bfi_b32 v13, s16, v14, v13
	v_mul_f32_e32 v12, 0.5, v12
	v_add_f32_e32 v13, 1.0, v13
	v_fma_mixlo_f16 v12, v12, v13, 0
	s_waitcnt vmcnt(0)
	v_mul_f16_e32 v13, v11, v12
	v_add_co_u32_e32 v11, vcc, s8, v2
	v_addc_co_u32_e32 v12, vcc, v9, v3, vcc
	v_add_co_u32_e32 v0, vcc, s9, v0
	v_addc_co_u32_e32 v1, vcc, 0, v1, vcc
	v_cmp_le_i64_e32 vcc, s[0:1], v[0:1]
	global_store_short v[11:12], v13, off
	s_or_b64 s[2:3], vcc, s[2:3]
	v_add_co_u32_e32 v2, vcc, s10, v2
	v_addc_co_u32_e32 v3, vcc, 0, v3, vcc
	s_andn2_b64 exec, exec, s[2:3]
	s_cbranch_execz .LBB10_7
.LBB10_3:                               ; =>This Inner Loop Header: Depth=1
	v_add_co_u32_e32 v11, vcc, s6, v2
	v_addc_co_u32_e32 v12, vcc, v4, v3, vcc
	global_load_ushort v13, v[11:12], off
	v_add_co_u32_e32 v11, vcc, s7, v2
	v_addc_co_u32_e32 v12, vcc, v5, v3, vcc
	global_load_ushort v11, v[11:12], off
	s_waitcnt vmcnt(1)
	v_cvt_f32_f16_e32 v12, v13
	v_mul_f32_e32 v14, v12, v12
	v_mul_f32_e32 v14, v14, v12
	v_fma_mix_f32 v13, v14, s11, v13 op_sel_hi:[0,0,1]
	v_mul_f32_e32 v13, 0x3f4c422a, v13
	v_cmp_nlt_f32_e64 s[4:5], |v13|, s12
                                        ; implicit-def: $vgpr14
	s_and_saveexec_b64 s[18:19], s[4:5]
	s_xor_b64 s[4:5], exec, s[18:19]
	s_cbranch_execz .LBB10_5
; %bb.4:                                ;   in Loop: Header=BB10_3 Depth=1
	v_add_f32_e64 v14, |v13|, |v13|
	v_mul_f32_e32 v15, 0x3fb8aa3b, v14
	v_rndne_f32_e32 v16, v15
	v_sub_f32_e32 v17, v15, v16
	v_fma_f32 v15, v14, s13, -v15
	v_fmac_f32_e32 v15, 0x32a5705f, v14
	v_add_f32_e32 v15, v17, v15
	v_cvt_i32_f32_e32 v16, v16
	v_exp_f32_e32 v15, v15
	v_cmp_ngt_f32_e32 vcc, s14, v14
	v_ldexp_f32 v15, v15, v16
	v_cndmask_b32_e32 v15, 0, v15, vcc
	v_cmp_nlt_f32_e32 vcc, s15, v14
	v_cndmask_b32_e32 v14, v10, v15, vcc
	v_add_f32_e32 v14, 1.0, v14
	v_rcp_f32_e32 v14, v14
	v_fma_f32 v14, v14, -2.0, 1.0
.LBB10_5:                               ;   in Loop: Header=BB10_3 Depth=1
	s_andn2_saveexec_b64 s[4:5], s[4:5]
	s_cbranch_execz .LBB10_2
; %bb.6:                                ;   in Loop: Header=BB10_3 Depth=1
	v_mul_f32_e32 v14, v13, v13
	v_mov_b32_e32 v15, 0x3ca908c9
	v_fmac_f32_e32 v15, 0xbbbac73d, v14
	v_fma_f32 v15, v14, v15, v6
	v_fma_f32 v15, v14, v15, v7
	;; [unrolled: 1-line block ×3, first 2 shown]
	v_mul_f32_e64 v15, |v13|, v15
	v_fma_f32 v14, v14, v15, |v13|
	s_branch .LBB10_2
.LBB10_7:
	s_endpgm
	.section	.rodata,"a",@progbits
	.p2align	6, 0x0
	.amdhsa_kernel _ZN4vllm18act_and_mul_kernelIN3c104HalfETnPFT_RKS3_EXadL_ZNS_16gelu_tanh_kernelIS2_EES3_S5_EELb1EEEvPS3_PS4_i
		.amdhsa_group_segment_fixed_size 0
		.amdhsa_private_segment_fixed_size 0
		.amdhsa_kernarg_size 280
		.amdhsa_user_sgpr_count 6
		.amdhsa_user_sgpr_private_segment_buffer 1
		.amdhsa_user_sgpr_dispatch_ptr 0
		.amdhsa_user_sgpr_queue_ptr 0
		.amdhsa_user_sgpr_kernarg_segment_ptr 1
		.amdhsa_user_sgpr_dispatch_id 0
		.amdhsa_user_sgpr_flat_scratch_init 0
		.amdhsa_user_sgpr_private_segment_size 0
		.amdhsa_uses_dynamic_stack 0
		.amdhsa_system_sgpr_private_segment_wavefront_offset 0
		.amdhsa_system_sgpr_workgroup_id_x 1
		.amdhsa_system_sgpr_workgroup_id_y 0
		.amdhsa_system_sgpr_workgroup_id_z 0
		.amdhsa_system_sgpr_workgroup_info 0
		.amdhsa_system_vgpr_workitem_id 0
		.amdhsa_next_free_vgpr 18
		.amdhsa_next_free_sgpr 20
		.amdhsa_reserve_vcc 1
		.amdhsa_reserve_flat_scratch 0
		.amdhsa_float_round_mode_32 0
		.amdhsa_float_round_mode_16_64 0
		.amdhsa_float_denorm_mode_32 3
		.amdhsa_float_denorm_mode_16_64 3
		.amdhsa_dx10_clamp 1
		.amdhsa_ieee_mode 1
		.amdhsa_fp16_overflow 0
		.amdhsa_exception_fp_ieee_invalid_op 0
		.amdhsa_exception_fp_denorm_src 0
		.amdhsa_exception_fp_ieee_div_zero 0
		.amdhsa_exception_fp_ieee_overflow 0
		.amdhsa_exception_fp_ieee_underflow 0
		.amdhsa_exception_fp_ieee_inexact 0
		.amdhsa_exception_int_div_zero 0
	.end_amdhsa_kernel
	.section	.text._ZN4vllm18act_and_mul_kernelIN3c104HalfETnPFT_RKS3_EXadL_ZNS_16gelu_tanh_kernelIS2_EES3_S5_EELb1EEEvPS3_PS4_i,"axG",@progbits,_ZN4vllm18act_and_mul_kernelIN3c104HalfETnPFT_RKS3_EXadL_ZNS_16gelu_tanh_kernelIS2_EES3_S5_EELb1EEEvPS3_PS4_i,comdat
.Lfunc_end10:
	.size	_ZN4vllm18act_and_mul_kernelIN3c104HalfETnPFT_RKS3_EXadL_ZNS_16gelu_tanh_kernelIS2_EES3_S5_EELb1EEEvPS3_PS4_i, .Lfunc_end10-_ZN4vllm18act_and_mul_kernelIN3c104HalfETnPFT_RKS3_EXadL_ZNS_16gelu_tanh_kernelIS2_EES3_S5_EELb1EEEvPS3_PS4_i
                                        ; -- End function
	.set _ZN4vllm18act_and_mul_kernelIN3c104HalfETnPFT_RKS3_EXadL_ZNS_16gelu_tanh_kernelIS2_EES3_S5_EELb1EEEvPS3_PS4_i.num_vgpr, 18
	.set _ZN4vllm18act_and_mul_kernelIN3c104HalfETnPFT_RKS3_EXadL_ZNS_16gelu_tanh_kernelIS2_EES3_S5_EELb1EEEvPS3_PS4_i.num_agpr, 0
	.set _ZN4vllm18act_and_mul_kernelIN3c104HalfETnPFT_RKS3_EXadL_ZNS_16gelu_tanh_kernelIS2_EES3_S5_EELb1EEEvPS3_PS4_i.numbered_sgpr, 20
	.set _ZN4vllm18act_and_mul_kernelIN3c104HalfETnPFT_RKS3_EXadL_ZNS_16gelu_tanh_kernelIS2_EES3_S5_EELb1EEEvPS3_PS4_i.num_named_barrier, 0
	.set _ZN4vllm18act_and_mul_kernelIN3c104HalfETnPFT_RKS3_EXadL_ZNS_16gelu_tanh_kernelIS2_EES3_S5_EELb1EEEvPS3_PS4_i.private_seg_size, 0
	.set _ZN4vllm18act_and_mul_kernelIN3c104HalfETnPFT_RKS3_EXadL_ZNS_16gelu_tanh_kernelIS2_EES3_S5_EELb1EEEvPS3_PS4_i.uses_vcc, 1
	.set _ZN4vllm18act_and_mul_kernelIN3c104HalfETnPFT_RKS3_EXadL_ZNS_16gelu_tanh_kernelIS2_EES3_S5_EELb1EEEvPS3_PS4_i.uses_flat_scratch, 0
	.set _ZN4vllm18act_and_mul_kernelIN3c104HalfETnPFT_RKS3_EXadL_ZNS_16gelu_tanh_kernelIS2_EES3_S5_EELb1EEEvPS3_PS4_i.has_dyn_sized_stack, 0
	.set _ZN4vllm18act_and_mul_kernelIN3c104HalfETnPFT_RKS3_EXadL_ZNS_16gelu_tanh_kernelIS2_EES3_S5_EELb1EEEvPS3_PS4_i.has_recursion, 0
	.set _ZN4vllm18act_and_mul_kernelIN3c104HalfETnPFT_RKS3_EXadL_ZNS_16gelu_tanh_kernelIS2_EES3_S5_EELb1EEEvPS3_PS4_i.has_indirect_call, 0
	.section	.AMDGPU.csdata,"",@progbits
; Kernel info:
; codeLenInByte = 556
; TotalNumSgprs: 24
; NumVgprs: 18
; ScratchSize: 0
; MemoryBound: 0
; FloatMode: 240
; IeeeMode: 1
; LDSByteSize: 0 bytes/workgroup (compile time only)
; SGPRBlocks: 2
; VGPRBlocks: 4
; NumSGPRsForWavesPerEU: 24
; NumVGPRsForWavesPerEU: 18
; Occupancy: 10
; WaveLimiterHint : 0
; COMPUTE_PGM_RSRC2:SCRATCH_EN: 0
; COMPUTE_PGM_RSRC2:USER_SGPR: 6
; COMPUTE_PGM_RSRC2:TRAP_HANDLER: 0
; COMPUTE_PGM_RSRC2:TGID_X_EN: 1
; COMPUTE_PGM_RSRC2:TGID_Y_EN: 0
; COMPUTE_PGM_RSRC2:TGID_Z_EN: 0
; COMPUTE_PGM_RSRC2:TIDIG_COMP_CNT: 0
	.section	.text._ZN4vllm18act_and_mul_kernelIN3c108BFloat16ETnPFT_RKS3_EXadL_ZNS_16gelu_tanh_kernelIS2_EES3_S5_EELb1EEEvPS3_PS4_i,"axG",@progbits,_ZN4vllm18act_and_mul_kernelIN3c108BFloat16ETnPFT_RKS3_EXadL_ZNS_16gelu_tanh_kernelIS2_EES3_S5_EELb1EEEvPS3_PS4_i,comdat
	.protected	_ZN4vllm18act_and_mul_kernelIN3c108BFloat16ETnPFT_RKS3_EXadL_ZNS_16gelu_tanh_kernelIS2_EES3_S5_EELb1EEEvPS3_PS4_i ; -- Begin function _ZN4vllm18act_and_mul_kernelIN3c108BFloat16ETnPFT_RKS3_EXadL_ZNS_16gelu_tanh_kernelIS2_EES3_S5_EELb1EEEvPS3_PS4_i
	.globl	_ZN4vllm18act_and_mul_kernelIN3c108BFloat16ETnPFT_RKS3_EXadL_ZNS_16gelu_tanh_kernelIS2_EES3_S5_EELb1EEEvPS3_PS4_i
	.p2align	8
	.type	_ZN4vllm18act_and_mul_kernelIN3c108BFloat16ETnPFT_RKS3_EXadL_ZNS_16gelu_tanh_kernelIS2_EES3_S5_EELb1EEEvPS3_PS4_i,@function
_ZN4vllm18act_and_mul_kernelIN3c108BFloat16ETnPFT_RKS3_EXadL_ZNS_16gelu_tanh_kernelIS2_EES3_S5_EELb1EEEvPS3_PS4_i: ; @_ZN4vllm18act_and_mul_kernelIN3c108BFloat16ETnPFT_RKS3_EXadL_ZNS_16gelu_tanh_kernelIS2_EES3_S5_EELb1EEEvPS3_PS4_i
; %bb.0:
	s_load_dword s0, s[4:5], 0x10
	s_waitcnt lgkmcnt(0)
	v_cmp_gt_i32_e32 vcc, s0, v0
	s_and_saveexec_b64 s[2:3], vcc
	s_cbranch_execz .LBB11_7
; %bb.1:
	s_load_dwordx4 s[8:11], s[4:5], 0x0
	s_load_dword s12, s[4:5], 0x24
	s_ashr_i32 s1, s0, 31
	s_mul_hi_u32 s2, s6, s0
	s_mul_i32 s3, s6, s1
	s_add_i32 s3, s2, s3
	s_mul_i32 s2, s6, s0
	s_lshl_b64 s[6:7], s[2:3], 2
	s_waitcnt lgkmcnt(0)
	s_add_u32 s6, s10, s6
	s_addc_u32 s11, s11, s7
	s_lshl_b64 s[4:5], s[0:1], 1
	s_add_u32 s7, s6, s4
	s_addc_u32 s4, s11, s5
	s_lshl_b64 s[2:3], s[2:3], 1
	s_add_u32 s8, s8, s2
	v_mov_b32_e32 v1, 0
	s_addc_u32 s5, s9, s3
	s_and_b32 s9, s12, 0xffff
	v_lshlrev_b32_e32 v2, 1, v0
	v_mov_b32_e32 v3, v1
	s_lshl_b32 s10, s9, 1
	s_mov_b64 s[2:3], 0
	v_mov_b32_e32 v4, s11
	v_mov_b32_e32 v5, s4
	s_mov_b32 s11, 0x3f200000
	s_mov_b32 s12, 0x3fb8aa3b
	;; [unrolled: 1-line block ×4, first 2 shown]
	v_mov_b32_e32 v6, 0xbd5c1c4e
	v_mov_b32_e32 v7, 0x3e088382
	;; [unrolled: 1-line block ×3, first 2 shown]
	s_brev_b32 s15, -2
	s_movk_i32 s16, 0x7fff
	v_mov_b32_e32 v9, 0x7fc00000
	v_mov_b32_e32 v10, 0x7fc0
	;; [unrolled: 1-line block ×4, first 2 shown]
	s_branch .LBB11_3
.LBB11_2:                               ;   in Loop: Header=BB11_3 Depth=1
	s_or_b64 exec, exec, s[4:5]
	v_bfi_b32 v15, s15, v16, v15
	v_mul_f32_e32 v14, 0.5, v14
	v_add_f32_e32 v15, 1.0, v15
	v_mul_f32_e32 v14, v14, v15
	v_bfe_u32 v15, v14, 16, 1
	v_add3_u32 v15, v14, v15, s16
	v_and_b32_e32 v15, 0xffff0000, v15
	v_cmp_o_f32_e32 vcc, v14, v14
	v_cndmask_b32_e32 v14, v9, v15, vcc
	s_waitcnt vmcnt(0)
	v_lshlrev_b32_e32 v13, 16, v13
	v_mul_f32_e32 v13, v14, v13
	v_bfe_u32 v14, v13, 16, 1
	v_add3_u32 v14, v13, v14, s16
	v_lshrrev_b32_e32 v14, 16, v14
	v_cmp_o_f32_e32 vcc, v13, v13
	v_cndmask_b32_e32 v15, v10, v14, vcc
	v_add_co_u32_e32 v13, vcc, s8, v2
	v_addc_co_u32_e32 v14, vcc, v11, v3, vcc
	v_add_co_u32_e32 v0, vcc, s9, v0
	v_addc_co_u32_e32 v1, vcc, 0, v1, vcc
	v_cmp_le_i64_e32 vcc, s[0:1], v[0:1]
	global_store_short v[13:14], v15, off
	s_or_b64 s[2:3], vcc, s[2:3]
	v_add_co_u32_e32 v2, vcc, s10, v2
	v_addc_co_u32_e32 v3, vcc, 0, v3, vcc
	s_andn2_b64 exec, exec, s[2:3]
	s_cbranch_execz .LBB11_7
.LBB11_3:                               ; =>This Inner Loop Header: Depth=1
	v_add_co_u32_e32 v13, vcc, s6, v2
	v_addc_co_u32_e32 v14, vcc, v4, v3, vcc
	global_load_ushort v15, v[13:14], off
	v_add_co_u32_e32 v13, vcc, s7, v2
	v_addc_co_u32_e32 v14, vcc, v5, v3, vcc
	global_load_ushort v13, v[13:14], off
	s_waitcnt vmcnt(1)
	v_lshlrev_b32_e32 v14, 16, v15
	v_mul_f32_e32 v15, v14, v14
	v_mul_f32_e32 v15, v15, v14
	v_mov_b32_e32 v16, v14
	v_fmac_f32_e32 v16, 0x3d372713, v15
	v_mul_f32_e32 v15, 0x3f4c422a, v16
	v_cmp_nlt_f32_e64 s[4:5], |v15|, s11
                                        ; implicit-def: $vgpr16
	s_and_saveexec_b64 s[18:19], s[4:5]
	s_xor_b64 s[4:5], exec, s[18:19]
	s_cbranch_execz .LBB11_5
; %bb.4:                                ;   in Loop: Header=BB11_3 Depth=1
	v_add_f32_e64 v16, |v15|, |v15|
	v_mul_f32_e32 v17, 0x3fb8aa3b, v16
	v_rndne_f32_e32 v18, v17
	v_sub_f32_e32 v19, v17, v18
	v_fma_f32 v17, v16, s12, -v17
	v_fmac_f32_e32 v17, 0x32a5705f, v16
	v_add_f32_e32 v17, v19, v17
	v_cvt_i32_f32_e32 v18, v18
	v_exp_f32_e32 v17, v17
	v_cmp_ngt_f32_e32 vcc, s13, v16
	v_ldexp_f32 v17, v17, v18
	v_cndmask_b32_e32 v17, 0, v17, vcc
	v_cmp_nlt_f32_e32 vcc, s14, v16
	v_cndmask_b32_e32 v16, v12, v17, vcc
	v_add_f32_e32 v16, 1.0, v16
	v_rcp_f32_e32 v16, v16
	v_fma_f32 v16, v16, -2.0, 1.0
.LBB11_5:                               ;   in Loop: Header=BB11_3 Depth=1
	s_andn2_saveexec_b64 s[4:5], s[4:5]
	s_cbranch_execz .LBB11_2
; %bb.6:                                ;   in Loop: Header=BB11_3 Depth=1
	v_mul_f32_e32 v16, v15, v15
	v_mov_b32_e32 v17, 0x3ca908c9
	v_fmac_f32_e32 v17, 0xbbbac73d, v16
	v_fma_f32 v17, v16, v17, v6
	v_fma_f32 v17, v16, v17, v7
	;; [unrolled: 1-line block ×3, first 2 shown]
	v_mul_f32_e64 v17, |v15|, v17
	v_fma_f32 v16, v16, v17, |v15|
	s_branch .LBB11_2
.LBB11_7:
	s_endpgm
	.section	.rodata,"a",@progbits
	.p2align	6, 0x0
	.amdhsa_kernel _ZN4vllm18act_and_mul_kernelIN3c108BFloat16ETnPFT_RKS3_EXadL_ZNS_16gelu_tanh_kernelIS2_EES3_S5_EELb1EEEvPS3_PS4_i
		.amdhsa_group_segment_fixed_size 0
		.amdhsa_private_segment_fixed_size 0
		.amdhsa_kernarg_size 280
		.amdhsa_user_sgpr_count 6
		.amdhsa_user_sgpr_private_segment_buffer 1
		.amdhsa_user_sgpr_dispatch_ptr 0
		.amdhsa_user_sgpr_queue_ptr 0
		.amdhsa_user_sgpr_kernarg_segment_ptr 1
		.amdhsa_user_sgpr_dispatch_id 0
		.amdhsa_user_sgpr_flat_scratch_init 0
		.amdhsa_user_sgpr_private_segment_size 0
		.amdhsa_uses_dynamic_stack 0
		.amdhsa_system_sgpr_private_segment_wavefront_offset 0
		.amdhsa_system_sgpr_workgroup_id_x 1
		.amdhsa_system_sgpr_workgroup_id_y 0
		.amdhsa_system_sgpr_workgroup_id_z 0
		.amdhsa_system_sgpr_workgroup_info 0
		.amdhsa_system_vgpr_workitem_id 0
		.amdhsa_next_free_vgpr 20
		.amdhsa_next_free_sgpr 20
		.amdhsa_reserve_vcc 1
		.amdhsa_reserve_flat_scratch 0
		.amdhsa_float_round_mode_32 0
		.amdhsa_float_round_mode_16_64 0
		.amdhsa_float_denorm_mode_32 3
		.amdhsa_float_denorm_mode_16_64 3
		.amdhsa_dx10_clamp 1
		.amdhsa_ieee_mode 1
		.amdhsa_fp16_overflow 0
		.amdhsa_exception_fp_ieee_invalid_op 0
		.amdhsa_exception_fp_denorm_src 0
		.amdhsa_exception_fp_ieee_div_zero 0
		.amdhsa_exception_fp_ieee_overflow 0
		.amdhsa_exception_fp_ieee_underflow 0
		.amdhsa_exception_fp_ieee_inexact 0
		.amdhsa_exception_int_div_zero 0
	.end_amdhsa_kernel
	.section	.text._ZN4vllm18act_and_mul_kernelIN3c108BFloat16ETnPFT_RKS3_EXadL_ZNS_16gelu_tanh_kernelIS2_EES3_S5_EELb1EEEvPS3_PS4_i,"axG",@progbits,_ZN4vllm18act_and_mul_kernelIN3c108BFloat16ETnPFT_RKS3_EXadL_ZNS_16gelu_tanh_kernelIS2_EES3_S5_EELb1EEEvPS3_PS4_i,comdat
.Lfunc_end11:
	.size	_ZN4vllm18act_and_mul_kernelIN3c108BFloat16ETnPFT_RKS3_EXadL_ZNS_16gelu_tanh_kernelIS2_EES3_S5_EELb1EEEvPS3_PS4_i, .Lfunc_end11-_ZN4vllm18act_and_mul_kernelIN3c108BFloat16ETnPFT_RKS3_EXadL_ZNS_16gelu_tanh_kernelIS2_EES3_S5_EELb1EEEvPS3_PS4_i
                                        ; -- End function
	.set _ZN4vllm18act_and_mul_kernelIN3c108BFloat16ETnPFT_RKS3_EXadL_ZNS_16gelu_tanh_kernelIS2_EES3_S5_EELb1EEEvPS3_PS4_i.num_vgpr, 20
	.set _ZN4vllm18act_and_mul_kernelIN3c108BFloat16ETnPFT_RKS3_EXadL_ZNS_16gelu_tanh_kernelIS2_EES3_S5_EELb1EEEvPS3_PS4_i.num_agpr, 0
	.set _ZN4vllm18act_and_mul_kernelIN3c108BFloat16ETnPFT_RKS3_EXadL_ZNS_16gelu_tanh_kernelIS2_EES3_S5_EELb1EEEvPS3_PS4_i.numbered_sgpr, 20
	.set _ZN4vllm18act_and_mul_kernelIN3c108BFloat16ETnPFT_RKS3_EXadL_ZNS_16gelu_tanh_kernelIS2_EES3_S5_EELb1EEEvPS3_PS4_i.num_named_barrier, 0
	.set _ZN4vllm18act_and_mul_kernelIN3c108BFloat16ETnPFT_RKS3_EXadL_ZNS_16gelu_tanh_kernelIS2_EES3_S5_EELb1EEEvPS3_PS4_i.private_seg_size, 0
	.set _ZN4vllm18act_and_mul_kernelIN3c108BFloat16ETnPFT_RKS3_EXadL_ZNS_16gelu_tanh_kernelIS2_EES3_S5_EELb1EEEvPS3_PS4_i.uses_vcc, 1
	.set _ZN4vllm18act_and_mul_kernelIN3c108BFloat16ETnPFT_RKS3_EXadL_ZNS_16gelu_tanh_kernelIS2_EES3_S5_EELb1EEEvPS3_PS4_i.uses_flat_scratch, 0
	.set _ZN4vllm18act_and_mul_kernelIN3c108BFloat16ETnPFT_RKS3_EXadL_ZNS_16gelu_tanh_kernelIS2_EES3_S5_EELb1EEEvPS3_PS4_i.has_dyn_sized_stack, 0
	.set _ZN4vllm18act_and_mul_kernelIN3c108BFloat16ETnPFT_RKS3_EXadL_ZNS_16gelu_tanh_kernelIS2_EES3_S5_EELb1EEEvPS3_PS4_i.has_recursion, 0
	.set _ZN4vllm18act_and_mul_kernelIN3c108BFloat16ETnPFT_RKS3_EXadL_ZNS_16gelu_tanh_kernelIS2_EES3_S5_EELb1EEEvPS3_PS4_i.has_indirect_call, 0
	.section	.AMDGPU.csdata,"",@progbits
; Kernel info:
; codeLenInByte = 632
; TotalNumSgprs: 24
; NumVgprs: 20
; ScratchSize: 0
; MemoryBound: 0
; FloatMode: 240
; IeeeMode: 1
; LDSByteSize: 0 bytes/workgroup (compile time only)
; SGPRBlocks: 2
; VGPRBlocks: 4
; NumSGPRsForWavesPerEU: 24
; NumVGPRsForWavesPerEU: 20
; Occupancy: 10
; WaveLimiterHint : 0
; COMPUTE_PGM_RSRC2:SCRATCH_EN: 0
; COMPUTE_PGM_RSRC2:USER_SGPR: 6
; COMPUTE_PGM_RSRC2:TRAP_HANDLER: 0
; COMPUTE_PGM_RSRC2:TGID_X_EN: 1
; COMPUTE_PGM_RSRC2:TGID_Y_EN: 0
; COMPUTE_PGM_RSRC2:TGID_Z_EN: 0
; COMPUTE_PGM_RSRC2:TIDIG_COMP_CNT: 0
	.section	.text._ZN4vllm29act_and_mul_kernel_with_paramIfTnPFT_RKS1_fEXadL_ZNS_14fatrelu_kernelIfEES1_S3_fEEEEvPS1_PS2_if,"axG",@progbits,_ZN4vllm29act_and_mul_kernel_with_paramIfTnPFT_RKS1_fEXadL_ZNS_14fatrelu_kernelIfEES1_S3_fEEEEvPS1_PS2_if,comdat
	.protected	_ZN4vllm29act_and_mul_kernel_with_paramIfTnPFT_RKS1_fEXadL_ZNS_14fatrelu_kernelIfEES1_S3_fEEEEvPS1_PS2_if ; -- Begin function _ZN4vllm29act_and_mul_kernel_with_paramIfTnPFT_RKS1_fEXadL_ZNS_14fatrelu_kernelIfEES1_S3_fEEEEvPS1_PS2_if
	.globl	_ZN4vllm29act_and_mul_kernel_with_paramIfTnPFT_RKS1_fEXadL_ZNS_14fatrelu_kernelIfEES1_S3_fEEEEvPS1_PS2_if
	.p2align	8
	.type	_ZN4vllm29act_and_mul_kernel_with_paramIfTnPFT_RKS1_fEXadL_ZNS_14fatrelu_kernelIfEES1_S3_fEEEEvPS1_PS2_if,@function
_ZN4vllm29act_and_mul_kernel_with_paramIfTnPFT_RKS1_fEXadL_ZNS_14fatrelu_kernelIfEES1_S3_fEEEEvPS1_PS2_if: ; @_ZN4vllm29act_and_mul_kernel_with_paramIfTnPFT_RKS1_fEXadL_ZNS_14fatrelu_kernelIfEES1_S3_fEEEEvPS1_PS2_if
; %bb.0:
	s_load_dwordx2 s[0:1], s[4:5], 0x10
	s_waitcnt lgkmcnt(0)
	v_cmp_gt_i32_e32 vcc, s0, v0
	s_and_saveexec_b64 s[2:3], vcc
	s_cbranch_execz .LBB12_3
; %bb.1:
	s_load_dwordx4 s[8:11], s[4:5], 0x0
	s_load_dword s14, s[4:5], 0x24
	s_ashr_i32 s3, s0, 31
	s_mul_hi_u32 s7, s6, s0
	s_mul_i32 s12, s6, s3
	s_add_i32 s13, s7, s12
	s_mul_i32 s12, s6, s0
	s_lshl_b64 s[6:7], s[12:13], 3
	s_mov_b32 s2, s0
	s_waitcnt lgkmcnt(0)
	s_add_u32 s0, s10, s6
	s_addc_u32 s10, s11, s7
	s_lshl_b64 s[4:5], s[2:3], 2
	s_add_u32 s6, s0, s4
	s_addc_u32 s11, s10, s5
	s_lshl_b64 s[4:5], s[12:13], 2
	s_add_u32 s7, s8, s4
	v_mov_b32_e32 v1, 0
	s_addc_u32 s12, s9, s5
	s_and_b32 s8, s14, 0xffff
	v_lshlrev_b32_e32 v2, 2, v0
	v_mov_b32_e32 v3, v1
	s_lshl_b32 s9, s8, 2
	s_mov_b64 s[4:5], 0
	v_mov_b32_e32 v4, s10
	v_mov_b32_e32 v5, s11
	;; [unrolled: 1-line block ×3, first 2 shown]
.LBB12_2:                               ; =>This Inner Loop Header: Depth=1
	v_add_co_u32_e32 v7, vcc, s0, v2
	v_addc_co_u32_e32 v8, vcc, v4, v3, vcc
	v_add_co_u32_e32 v9, vcc, s6, v2
	v_addc_co_u32_e32 v10, vcc, v5, v3, vcc
	global_load_dword v11, v[7:8], off
	global_load_dword v12, v[9:10], off
	v_add_co_u32_e32 v7, vcc, s7, v2
	v_addc_co_u32_e32 v8, vcc, v6, v3, vcc
	v_add_co_u32_e32 v0, vcc, s8, v0
	v_addc_co_u32_e32 v1, vcc, 0, v1, vcc
	;; [unrolled: 2-line block ×3, first 2 shown]
	v_cmp_le_i64_e32 vcc, s[2:3], v[0:1]
	s_or_b64 s[4:5], vcc, s[4:5]
	s_waitcnt vmcnt(1)
	v_cmp_lt_f32_e32 vcc, s1, v11
	v_cndmask_b32_e32 v9, 0, v11, vcc
	s_waitcnt vmcnt(0)
	v_mul_f32_e32 v9, v12, v9
	global_store_dword v[7:8], v9, off
	s_andn2_b64 exec, exec, s[4:5]
	s_cbranch_execnz .LBB12_2
.LBB12_3:
	s_endpgm
	.section	.rodata,"a",@progbits
	.p2align	6, 0x0
	.amdhsa_kernel _ZN4vllm29act_and_mul_kernel_with_paramIfTnPFT_RKS1_fEXadL_ZNS_14fatrelu_kernelIfEES1_S3_fEEEEvPS1_PS2_if
		.amdhsa_group_segment_fixed_size 0
		.amdhsa_private_segment_fixed_size 0
		.amdhsa_kernarg_size 280
		.amdhsa_user_sgpr_count 6
		.amdhsa_user_sgpr_private_segment_buffer 1
		.amdhsa_user_sgpr_dispatch_ptr 0
		.amdhsa_user_sgpr_queue_ptr 0
		.amdhsa_user_sgpr_kernarg_segment_ptr 1
		.amdhsa_user_sgpr_dispatch_id 0
		.amdhsa_user_sgpr_flat_scratch_init 0
		.amdhsa_user_sgpr_private_segment_size 0
		.amdhsa_uses_dynamic_stack 0
		.amdhsa_system_sgpr_private_segment_wavefront_offset 0
		.amdhsa_system_sgpr_workgroup_id_x 1
		.amdhsa_system_sgpr_workgroup_id_y 0
		.amdhsa_system_sgpr_workgroup_id_z 0
		.amdhsa_system_sgpr_workgroup_info 0
		.amdhsa_system_vgpr_workitem_id 0
		.amdhsa_next_free_vgpr 13
		.amdhsa_next_free_sgpr 15
		.amdhsa_reserve_vcc 1
		.amdhsa_reserve_flat_scratch 0
		.amdhsa_float_round_mode_32 0
		.amdhsa_float_round_mode_16_64 0
		.amdhsa_float_denorm_mode_32 3
		.amdhsa_float_denorm_mode_16_64 3
		.amdhsa_dx10_clamp 1
		.amdhsa_ieee_mode 1
		.amdhsa_fp16_overflow 0
		.amdhsa_exception_fp_ieee_invalid_op 0
		.amdhsa_exception_fp_denorm_src 0
		.amdhsa_exception_fp_ieee_div_zero 0
		.amdhsa_exception_fp_ieee_overflow 0
		.amdhsa_exception_fp_ieee_underflow 0
		.amdhsa_exception_fp_ieee_inexact 0
		.amdhsa_exception_int_div_zero 0
	.end_amdhsa_kernel
	.section	.text._ZN4vllm29act_and_mul_kernel_with_paramIfTnPFT_RKS1_fEXadL_ZNS_14fatrelu_kernelIfEES1_S3_fEEEEvPS1_PS2_if,"axG",@progbits,_ZN4vllm29act_and_mul_kernel_with_paramIfTnPFT_RKS1_fEXadL_ZNS_14fatrelu_kernelIfEES1_S3_fEEEEvPS1_PS2_if,comdat
.Lfunc_end12:
	.size	_ZN4vllm29act_and_mul_kernel_with_paramIfTnPFT_RKS1_fEXadL_ZNS_14fatrelu_kernelIfEES1_S3_fEEEEvPS1_PS2_if, .Lfunc_end12-_ZN4vllm29act_and_mul_kernel_with_paramIfTnPFT_RKS1_fEXadL_ZNS_14fatrelu_kernelIfEES1_S3_fEEEEvPS1_PS2_if
                                        ; -- End function
	.set _ZN4vllm29act_and_mul_kernel_with_paramIfTnPFT_RKS1_fEXadL_ZNS_14fatrelu_kernelIfEES1_S3_fEEEEvPS1_PS2_if.num_vgpr, 13
	.set _ZN4vllm29act_and_mul_kernel_with_paramIfTnPFT_RKS1_fEXadL_ZNS_14fatrelu_kernelIfEES1_S3_fEEEEvPS1_PS2_if.num_agpr, 0
	.set _ZN4vllm29act_and_mul_kernel_with_paramIfTnPFT_RKS1_fEXadL_ZNS_14fatrelu_kernelIfEES1_S3_fEEEEvPS1_PS2_if.numbered_sgpr, 15
	.set _ZN4vllm29act_and_mul_kernel_with_paramIfTnPFT_RKS1_fEXadL_ZNS_14fatrelu_kernelIfEES1_S3_fEEEEvPS1_PS2_if.num_named_barrier, 0
	.set _ZN4vllm29act_and_mul_kernel_with_paramIfTnPFT_RKS1_fEXadL_ZNS_14fatrelu_kernelIfEES1_S3_fEEEEvPS1_PS2_if.private_seg_size, 0
	.set _ZN4vllm29act_and_mul_kernel_with_paramIfTnPFT_RKS1_fEXadL_ZNS_14fatrelu_kernelIfEES1_S3_fEEEEvPS1_PS2_if.uses_vcc, 1
	.set _ZN4vllm29act_and_mul_kernel_with_paramIfTnPFT_RKS1_fEXadL_ZNS_14fatrelu_kernelIfEES1_S3_fEEEEvPS1_PS2_if.uses_flat_scratch, 0
	.set _ZN4vllm29act_and_mul_kernel_with_paramIfTnPFT_RKS1_fEXadL_ZNS_14fatrelu_kernelIfEES1_S3_fEEEEvPS1_PS2_if.has_dyn_sized_stack, 0
	.set _ZN4vllm29act_and_mul_kernel_with_paramIfTnPFT_RKS1_fEXadL_ZNS_14fatrelu_kernelIfEES1_S3_fEEEEvPS1_PS2_if.has_recursion, 0
	.set _ZN4vllm29act_and_mul_kernel_with_paramIfTnPFT_RKS1_fEXadL_ZNS_14fatrelu_kernelIfEES1_S3_fEEEEvPS1_PS2_if.has_indirect_call, 0
	.section	.AMDGPU.csdata,"",@progbits
; Kernel info:
; codeLenInByte = 248
; TotalNumSgprs: 19
; NumVgprs: 13
; ScratchSize: 0
; MemoryBound: 0
; FloatMode: 240
; IeeeMode: 1
; LDSByteSize: 0 bytes/workgroup (compile time only)
; SGPRBlocks: 2
; VGPRBlocks: 3
; NumSGPRsForWavesPerEU: 19
; NumVGPRsForWavesPerEU: 13
; Occupancy: 10
; WaveLimiterHint : 0
; COMPUTE_PGM_RSRC2:SCRATCH_EN: 0
; COMPUTE_PGM_RSRC2:USER_SGPR: 6
; COMPUTE_PGM_RSRC2:TRAP_HANDLER: 0
; COMPUTE_PGM_RSRC2:TGID_X_EN: 1
; COMPUTE_PGM_RSRC2:TGID_Y_EN: 0
; COMPUTE_PGM_RSRC2:TGID_Z_EN: 0
; COMPUTE_PGM_RSRC2:TIDIG_COMP_CNT: 0
	.section	.text._ZN4vllm29act_and_mul_kernel_with_paramIN3c104HalfETnPFT_RKS3_fEXadL_ZNS_14fatrelu_kernelIS2_EES3_S5_fEEEEvPS3_PS4_if,"axG",@progbits,_ZN4vllm29act_and_mul_kernel_with_paramIN3c104HalfETnPFT_RKS3_fEXadL_ZNS_14fatrelu_kernelIS2_EES3_S5_fEEEEvPS3_PS4_if,comdat
	.protected	_ZN4vllm29act_and_mul_kernel_with_paramIN3c104HalfETnPFT_RKS3_fEXadL_ZNS_14fatrelu_kernelIS2_EES3_S5_fEEEEvPS3_PS4_if ; -- Begin function _ZN4vllm29act_and_mul_kernel_with_paramIN3c104HalfETnPFT_RKS3_fEXadL_ZNS_14fatrelu_kernelIS2_EES3_S5_fEEEEvPS3_PS4_if
	.globl	_ZN4vllm29act_and_mul_kernel_with_paramIN3c104HalfETnPFT_RKS3_fEXadL_ZNS_14fatrelu_kernelIS2_EES3_S5_fEEEEvPS3_PS4_if
	.p2align	8
	.type	_ZN4vllm29act_and_mul_kernel_with_paramIN3c104HalfETnPFT_RKS3_fEXadL_ZNS_14fatrelu_kernelIS2_EES3_S5_fEEEEvPS3_PS4_if,@function
_ZN4vllm29act_and_mul_kernel_with_paramIN3c104HalfETnPFT_RKS3_fEXadL_ZNS_14fatrelu_kernelIS2_EES3_S5_fEEEEvPS3_PS4_if: ; @_ZN4vllm29act_and_mul_kernel_with_paramIN3c104HalfETnPFT_RKS3_fEXadL_ZNS_14fatrelu_kernelIS2_EES3_S5_fEEEEvPS3_PS4_if
; %bb.0:
	s_load_dwordx2 s[2:3], s[4:5], 0x10
	s_waitcnt lgkmcnt(0)
	v_cmp_gt_i32_e32 vcc, s2, v0
	s_and_saveexec_b64 s[0:1], vcc
	s_cbranch_execz .LBB13_8
; %bb.1:
	v_mov_b32_e32 v1, 0
	s_ashr_i32 s13, s2, 31
	s_mov_b32 s12, s2
	v_add_u32_e32 v2, 1, v0
	v_mov_b32_e32 v3, v1
	s_load_dwordx4 s[8:11], s[4:5], 0x0
	s_load_dword s1, s[4:5], 0x24
	v_cmp_lt_i64_e32 vcc, s[12:13], v[2:3]
	v_mov_b32_e32 v4, s13
	v_cndmask_b32_e64 v3, v4, 0, vcc
	v_mov_b32_e32 v4, s2
	s_mul_hi_u32 s0, s6, s2
	s_mul_i32 s4, s6, s13
	v_cndmask_b32_e32 v2, v4, v2, vcc
	s_add_i32 s5, s0, s4
	s_mul_i32 s4, s6, s2
	v_sub_co_u32_e32 v2, vcc, v2, v0
	s_lshl_b64 s[14:15], s[4:5], 2
	s_waitcnt lgkmcnt(0)
	s_and_b32 s18, s1, 0xffff
	v_subbrev_co_u32_e32 v3, vcc, 0, v3, vcc
	v_cmp_lt_u64_e32 vcc, 1, v[2:3]
	s_cmp_eq_u32 s18, 1
	s_cselect_b64 s[0:1], -1, 0
	s_and_b64 s[20:21], vcc, s[0:1]
	s_mov_b64 s[0:1], -1
	s_and_saveexec_b64 s[16:17], s[20:21]
	s_cbranch_execz .LBB13_5
; %bb.2:
	s_lshl_b64 s[0:1], s[4:5], 1
	v_lshlrev_b64 v[10:11], 1, v[0:1]
	s_add_u32 s0, s8, s0
	s_mov_b32 s7, 0
	s_addc_u32 s1, s9, s1
	v_mov_b32_e32 v1, s1
	v_add_co_u32_e32 v6, vcc, s0, v10
	s_lshl_b64 s[0:1], s[6:7], 2
	s_or_b32 s0, s0, 2
	s_mul_i32 s6, s0, s13
	s_mul_hi_u32 s7, s0, s12
	s_add_i32 s6, s7, s6
	s_mul_i32 s1, s1, s12
	s_add_i32 s6, s6, s1
	s_mul_i32 s0, s0, s12
	s_add_u32 s0, s10, s0
	v_addc_co_u32_e32 v7, vcc, v1, v11, vcc
	s_addc_u32 s1, s11, s6
	v_mov_b32_e32 v1, s1
	v_add_co_u32_e32 v8, vcc, s0, v10
	s_add_u32 s0, s10, s14
	v_mov_b32_e32 v5, v3
	v_addc_co_u32_e32 v9, vcc, v1, v11, vcc
	s_addc_u32 s1, s11, s15
	v_and_b32_e32 v4, -2, v2
	v_mov_b32_e32 v1, s1
	v_add_co_u32_e32 v10, vcc, s0, v10
	v_mov_b32_e32 v13, v5
	s_mov_b32 s2, s3
	v_addc_co_u32_e32 v11, vcc, v1, v11, vcc
	s_mov_b64 s[0:1], 0
	s_mov_b32 s6, 0x5040100
	v_mov_b32_e32 v12, v4
.LBB13_3:                               ; =>This Inner Loop Header: Depth=1
	global_load_dword v1, v[10:11], off
	global_load_dword v14, v[8:9], off
	v_add_co_u32_e32 v12, vcc, -2, v12
	v_addc_co_u32_e32 v13, vcc, -1, v13, vcc
	v_add_co_u32_e32 v8, vcc, 4, v8
	v_addc_co_u32_e32 v9, vcc, 0, v9, vcc
	v_add_co_u32_e32 v10, vcc, 4, v10
	v_addc_co_u32_e32 v11, vcc, 0, v11, vcc
	v_cmp_eq_u64_e32 vcc, 0, v[12:13]
	s_or_b64 s[0:1], vcc, s[0:1]
	s_waitcnt vmcnt(1)
	v_cvt_f32_f16_e32 v15, v1
	v_lshrrev_b32_e32 v16, 16, v1
	v_cvt_f32_f16_e32 v17, v16
	v_cmp_lt_f32_e32 vcc, s2, v15
	v_cndmask_b32_e32 v1, 0, v1, vcc
	v_cmp_lt_f32_e32 vcc, s3, v17
	v_cndmask_b32_e32 v15, 0, v16, vcc
	v_perm_b32 v1, v15, v1, s6
	s_waitcnt vmcnt(0)
	v_pk_mul_f16 v1, v14, v1
	global_store_dword v[6:7], v1, off
	v_add_co_u32_e32 v6, vcc, 4, v6
	v_addc_co_u32_e32 v7, vcc, 0, v7, vcc
	s_andn2_b64 exec, exec, s[0:1]
	s_cbranch_execnz .LBB13_3
; %bb.4:
	s_or_b64 exec, exec, s[0:1]
	v_cmp_ne_u64_e32 vcc, v[2:3], v[4:5]
	v_add_co_u32_e64 v0, s[0:1], v4, v0
	v_addc_co_u32_e64 v1, s[0:1], 0, v5, s[0:1]
	s_orn2_b64 s[0:1], vcc, exec
.LBB13_5:
	s_or_b64 exec, exec, s[16:17]
	s_and_b64 exec, exec, s[0:1]
	s_cbranch_execz .LBB13_8
; %bb.6:
	s_add_u32 s2, s10, s14
	s_addc_u32 s7, s11, s15
	s_lshl_b64 s[0:1], s[12:13], 1
	s_add_u32 s6, s2, s0
	s_addc_u32 s10, s7, s1
	s_lshl_b64 s[0:1], s[4:5], 1
	s_add_u32 s4, s8, s0
	s_addc_u32 s8, s9, s1
	v_lshlrev_b64 v[2:3], 1, v[0:1]
	s_lshl_b32 s5, s18, 1
	s_mov_b64 s[0:1], 0
	v_mov_b32_e32 v4, s7
	v_mov_b32_e32 v5, s10
	;; [unrolled: 1-line block ×3, first 2 shown]
.LBB13_7:                               ; =>This Inner Loop Header: Depth=1
	v_add_co_u32_e32 v7, vcc, s2, v2
	v_addc_co_u32_e32 v8, vcc, v4, v3, vcc
	global_load_ushort v9, v[7:8], off
	v_add_co_u32_e32 v7, vcc, s6, v2
	v_addc_co_u32_e32 v8, vcc, v5, v3, vcc
	global_load_ushort v10, v[7:8], off
	v_add_co_u32_e32 v7, vcc, s4, v2
	v_addc_co_u32_e32 v8, vcc, v6, v3, vcc
	v_add_co_u32_e32 v0, vcc, s18, v0
	v_addc_co_u32_e32 v1, vcc, 0, v1, vcc
	;; [unrolled: 2-line block ×3, first 2 shown]
	v_cmp_le_i64_e32 vcc, s[12:13], v[0:1]
	s_or_b64 s[0:1], vcc, s[0:1]
	s_waitcnt vmcnt(1)
	v_cvt_f32_f16_e32 v11, v9
	v_cmp_lt_f32_e32 vcc, s3, v11
	v_cndmask_b32_e32 v9, 0, v9, vcc
	s_waitcnt vmcnt(0)
	v_mul_f16_e32 v9, v10, v9
	global_store_short v[7:8], v9, off
	s_andn2_b64 exec, exec, s[0:1]
	s_cbranch_execnz .LBB13_7
.LBB13_8:
	s_endpgm
	.section	.rodata,"a",@progbits
	.p2align	6, 0x0
	.amdhsa_kernel _ZN4vllm29act_and_mul_kernel_with_paramIN3c104HalfETnPFT_RKS3_fEXadL_ZNS_14fatrelu_kernelIS2_EES3_S5_fEEEEvPS3_PS4_if
		.amdhsa_group_segment_fixed_size 0
		.amdhsa_private_segment_fixed_size 0
		.amdhsa_kernarg_size 280
		.amdhsa_user_sgpr_count 6
		.amdhsa_user_sgpr_private_segment_buffer 1
		.amdhsa_user_sgpr_dispatch_ptr 0
		.amdhsa_user_sgpr_queue_ptr 0
		.amdhsa_user_sgpr_kernarg_segment_ptr 1
		.amdhsa_user_sgpr_dispatch_id 0
		.amdhsa_user_sgpr_flat_scratch_init 0
		.amdhsa_user_sgpr_private_segment_size 0
		.amdhsa_uses_dynamic_stack 0
		.amdhsa_system_sgpr_private_segment_wavefront_offset 0
		.amdhsa_system_sgpr_workgroup_id_x 1
		.amdhsa_system_sgpr_workgroup_id_y 0
		.amdhsa_system_sgpr_workgroup_id_z 0
		.amdhsa_system_sgpr_workgroup_info 0
		.amdhsa_system_vgpr_workitem_id 0
		.amdhsa_next_free_vgpr 18
		.amdhsa_next_free_sgpr 22
		.amdhsa_reserve_vcc 1
		.amdhsa_reserve_flat_scratch 0
		.amdhsa_float_round_mode_32 0
		.amdhsa_float_round_mode_16_64 0
		.amdhsa_float_denorm_mode_32 3
		.amdhsa_float_denorm_mode_16_64 3
		.amdhsa_dx10_clamp 1
		.amdhsa_ieee_mode 1
		.amdhsa_fp16_overflow 0
		.amdhsa_exception_fp_ieee_invalid_op 0
		.amdhsa_exception_fp_denorm_src 0
		.amdhsa_exception_fp_ieee_div_zero 0
		.amdhsa_exception_fp_ieee_overflow 0
		.amdhsa_exception_fp_ieee_underflow 0
		.amdhsa_exception_fp_ieee_inexact 0
		.amdhsa_exception_int_div_zero 0
	.end_amdhsa_kernel
	.section	.text._ZN4vllm29act_and_mul_kernel_with_paramIN3c104HalfETnPFT_RKS3_fEXadL_ZNS_14fatrelu_kernelIS2_EES3_S5_fEEEEvPS3_PS4_if,"axG",@progbits,_ZN4vllm29act_and_mul_kernel_with_paramIN3c104HalfETnPFT_RKS3_fEXadL_ZNS_14fatrelu_kernelIS2_EES3_S5_fEEEEvPS3_PS4_if,comdat
.Lfunc_end13:
	.size	_ZN4vllm29act_and_mul_kernel_with_paramIN3c104HalfETnPFT_RKS3_fEXadL_ZNS_14fatrelu_kernelIS2_EES3_S5_fEEEEvPS3_PS4_if, .Lfunc_end13-_ZN4vllm29act_and_mul_kernel_with_paramIN3c104HalfETnPFT_RKS3_fEXadL_ZNS_14fatrelu_kernelIS2_EES3_S5_fEEEEvPS3_PS4_if
                                        ; -- End function
	.set _ZN4vllm29act_and_mul_kernel_with_paramIN3c104HalfETnPFT_RKS3_fEXadL_ZNS_14fatrelu_kernelIS2_EES3_S5_fEEEEvPS3_PS4_if.num_vgpr, 18
	.set _ZN4vllm29act_and_mul_kernel_with_paramIN3c104HalfETnPFT_RKS3_fEXadL_ZNS_14fatrelu_kernelIS2_EES3_S5_fEEEEvPS3_PS4_if.num_agpr, 0
	.set _ZN4vllm29act_and_mul_kernel_with_paramIN3c104HalfETnPFT_RKS3_fEXadL_ZNS_14fatrelu_kernelIS2_EES3_S5_fEEEEvPS3_PS4_if.numbered_sgpr, 22
	.set _ZN4vllm29act_and_mul_kernel_with_paramIN3c104HalfETnPFT_RKS3_fEXadL_ZNS_14fatrelu_kernelIS2_EES3_S5_fEEEEvPS3_PS4_if.num_named_barrier, 0
	.set _ZN4vllm29act_and_mul_kernel_with_paramIN3c104HalfETnPFT_RKS3_fEXadL_ZNS_14fatrelu_kernelIS2_EES3_S5_fEEEEvPS3_PS4_if.private_seg_size, 0
	.set _ZN4vllm29act_and_mul_kernel_with_paramIN3c104HalfETnPFT_RKS3_fEXadL_ZNS_14fatrelu_kernelIS2_EES3_S5_fEEEEvPS3_PS4_if.uses_vcc, 1
	.set _ZN4vllm29act_and_mul_kernel_with_paramIN3c104HalfETnPFT_RKS3_fEXadL_ZNS_14fatrelu_kernelIS2_EES3_S5_fEEEEvPS3_PS4_if.uses_flat_scratch, 0
	.set _ZN4vllm29act_and_mul_kernel_with_paramIN3c104HalfETnPFT_RKS3_fEXadL_ZNS_14fatrelu_kernelIS2_EES3_S5_fEEEEvPS3_PS4_if.has_dyn_sized_stack, 0
	.set _ZN4vllm29act_and_mul_kernel_with_paramIN3c104HalfETnPFT_RKS3_fEXadL_ZNS_14fatrelu_kernelIS2_EES3_S5_fEEEEvPS3_PS4_if.has_recursion, 0
	.set _ZN4vllm29act_and_mul_kernel_with_paramIN3c104HalfETnPFT_RKS3_fEXadL_ZNS_14fatrelu_kernelIS2_EES3_S5_fEEEEvPS3_PS4_if.has_indirect_call, 0
	.section	.AMDGPU.csdata,"",@progbits
; Kernel info:
; codeLenInByte = 624
; TotalNumSgprs: 26
; NumVgprs: 18
; ScratchSize: 0
; MemoryBound: 0
; FloatMode: 240
; IeeeMode: 1
; LDSByteSize: 0 bytes/workgroup (compile time only)
; SGPRBlocks: 3
; VGPRBlocks: 4
; NumSGPRsForWavesPerEU: 26
; NumVGPRsForWavesPerEU: 18
; Occupancy: 10
; WaveLimiterHint : 0
; COMPUTE_PGM_RSRC2:SCRATCH_EN: 0
; COMPUTE_PGM_RSRC2:USER_SGPR: 6
; COMPUTE_PGM_RSRC2:TRAP_HANDLER: 0
; COMPUTE_PGM_RSRC2:TGID_X_EN: 1
; COMPUTE_PGM_RSRC2:TGID_Y_EN: 0
; COMPUTE_PGM_RSRC2:TGID_Z_EN: 0
; COMPUTE_PGM_RSRC2:TIDIG_COMP_CNT: 0
	.section	.text._ZN4vllm29act_and_mul_kernel_with_paramIN3c108BFloat16ETnPFT_RKS3_fEXadL_ZNS_14fatrelu_kernelIS2_EES3_S5_fEEEEvPS3_PS4_if,"axG",@progbits,_ZN4vllm29act_and_mul_kernel_with_paramIN3c108BFloat16ETnPFT_RKS3_fEXadL_ZNS_14fatrelu_kernelIS2_EES3_S5_fEEEEvPS3_PS4_if,comdat
	.protected	_ZN4vllm29act_and_mul_kernel_with_paramIN3c108BFloat16ETnPFT_RKS3_fEXadL_ZNS_14fatrelu_kernelIS2_EES3_S5_fEEEEvPS3_PS4_if ; -- Begin function _ZN4vllm29act_and_mul_kernel_with_paramIN3c108BFloat16ETnPFT_RKS3_fEXadL_ZNS_14fatrelu_kernelIS2_EES3_S5_fEEEEvPS3_PS4_if
	.globl	_ZN4vllm29act_and_mul_kernel_with_paramIN3c108BFloat16ETnPFT_RKS3_fEXadL_ZNS_14fatrelu_kernelIS2_EES3_S5_fEEEEvPS3_PS4_if
	.p2align	8
	.type	_ZN4vllm29act_and_mul_kernel_with_paramIN3c108BFloat16ETnPFT_RKS3_fEXadL_ZNS_14fatrelu_kernelIS2_EES3_S5_fEEEEvPS3_PS4_if,@function
_ZN4vllm29act_and_mul_kernel_with_paramIN3c108BFloat16ETnPFT_RKS3_fEXadL_ZNS_14fatrelu_kernelIS2_EES3_S5_fEEEEvPS3_PS4_if: ; @_ZN4vllm29act_and_mul_kernel_with_paramIN3c108BFloat16ETnPFT_RKS3_fEXadL_ZNS_14fatrelu_kernelIS2_EES3_S5_fEEEEvPS3_PS4_if
; %bb.0:
	s_load_dwordx2 s[2:3], s[4:5], 0x10
	s_waitcnt lgkmcnt(0)
	v_cmp_gt_i32_e32 vcc, s2, v0
	s_and_saveexec_b64 s[0:1], vcc
	s_cbranch_execz .LBB14_8
; %bb.1:
	v_mov_b32_e32 v1, 0
	s_ashr_i32 s13, s2, 31
	s_mov_b32 s12, s2
	v_add_u32_e32 v2, 1, v0
	v_mov_b32_e32 v3, v1
	s_load_dwordx4 s[8:11], s[4:5], 0x0
	s_load_dword s1, s[4:5], 0x24
	v_cmp_lt_i64_e32 vcc, s[12:13], v[2:3]
	v_mov_b32_e32 v4, s13
	v_cndmask_b32_e64 v3, v4, 0, vcc
	v_mov_b32_e32 v4, s2
	s_mul_hi_u32 s0, s6, s2
	s_mul_i32 s4, s6, s13
	v_cndmask_b32_e32 v2, v4, v2, vcc
	s_add_i32 s5, s0, s4
	s_mul_i32 s4, s6, s2
	v_sub_co_u32_e32 v2, vcc, v2, v0
	s_lshl_b64 s[14:15], s[4:5], 2
	s_waitcnt lgkmcnt(0)
	s_and_b32 s18, s1, 0xffff
	v_subbrev_co_u32_e32 v3, vcc, 0, v3, vcc
	v_cmp_lt_u64_e32 vcc, 1, v[2:3]
	s_cmp_eq_u32 s18, 1
	s_cselect_b64 s[0:1], -1, 0
	s_and_b64 s[20:21], vcc, s[0:1]
	s_mov_b64 s[0:1], -1
	s_and_saveexec_b64 s[16:17], s[20:21]
	s_cbranch_execz .LBB14_5
; %bb.2:
	s_lshl_b64 s[0:1], s[4:5], 1
	v_lshlrev_b64 v[10:11], 1, v[0:1]
	s_add_u32 s0, s8, s0
	s_mov_b32 s7, 0
	s_addc_u32 s1, s9, s1
	v_mov_b32_e32 v1, s1
	v_add_co_u32_e32 v6, vcc, s0, v10
	s_lshl_b64 s[0:1], s[6:7], 2
	s_or_b32 s0, s0, 2
	s_mul_i32 s6, s0, s13
	s_mul_hi_u32 s7, s0, s12
	s_add_i32 s6, s7, s6
	s_mul_i32 s1, s1, s12
	s_add_i32 s6, s6, s1
	s_mul_i32 s0, s0, s12
	s_add_u32 s0, s10, s0
	v_addc_co_u32_e32 v7, vcc, v1, v11, vcc
	s_addc_u32 s1, s11, s6
	v_mov_b32_e32 v1, s1
	v_add_co_u32_e32 v8, vcc, s0, v10
	s_add_u32 s0, s10, s14
	v_mov_b32_e32 v5, v3
	v_addc_co_u32_e32 v9, vcc, v1, v11, vcc
	s_addc_u32 s1, s11, s15
	v_and_b32_e32 v4, -2, v2
	v_mov_b32_e32 v1, s1
	v_add_co_u32_e32 v10, vcc, s0, v10
	v_mov_b32_e32 v13, v5
	s_mov_b32 s2, s3
	v_addc_co_u32_e32 v11, vcc, v1, v11, vcc
	s_mov_b64 s[6:7], 0
	s_movk_i32 s19, 0x7fff
	v_mov_b32_e32 v1, 0x7fc00000
	v_mov_b32_e32 v14, 0x7fc0
	s_mov_b32 s20, 0x5040100
	v_mov_b32_e32 v15, 1
	v_mov_b32_e32 v12, v4
.LBB14_3:                               ; =>This Inner Loop Header: Depth=1
	global_load_dword v16, v[10:11], off
	global_load_dword v17, v[8:9], off
	v_add_co_u32_e32 v12, vcc, -2, v12
	v_addc_co_u32_e32 v13, vcc, -1, v13, vcc
	v_add_co_u32_e32 v8, vcc, 4, v8
	v_addc_co_u32_e32 v9, vcc, 0, v9, vcc
	v_add_co_u32_e32 v10, vcc, 4, v10
	v_addc_co_u32_e32 v11, vcc, 0, v11, vcc
	v_cmp_eq_u64_e32 vcc, 0, v[12:13]
	s_or_b64 s[6:7], vcc, s[6:7]
	s_waitcnt vmcnt(1)
	v_and_b32_e32 v18, 0xffff0000, v16
	v_lshlrev_b32_e32 v16, 16, v16
	v_cmp_lt_f32_e32 vcc, s3, v18
	v_cndmask_b32_e32 v18, 0, v18, vcc
	v_cmp_lt_f32_e32 vcc, s2, v16
	v_cndmask_b32_e32 v16, 0, v16, vcc
	v_and_b32_sdwa v20, v18, v15 dst_sel:DWORD dst_unused:UNUSED_PAD src0_sel:WORD_1 src1_sel:DWORD
	v_and_b32_sdwa v21, v16, v15 dst_sel:DWORD dst_unused:UNUSED_PAD src0_sel:WORD_1 src1_sel:DWORD
	v_or_b32_e32 v20, v18, v20
	v_or_b32_e32 v21, v16, v21
	v_add_u32_e32 v20, 0x7fff, v20
	v_add_u32_e32 v21, 0x7fff, v21
	v_and_b32_e32 v20, 0xffff0000, v20
	v_and_b32_e32 v21, 0xffff0000, v21
	v_cmp_o_f32_e32 vcc, v16, v16
	v_cmp_o_f32_e64 s[0:1], v18, v18
	s_waitcnt vmcnt(0)
	v_and_b32_e32 v19, 0xffff0000, v17
	v_lshlrev_b32_e32 v17, 16, v17
	v_cndmask_b32_e64 v16, v1, v20, s[0:1]
	v_cndmask_b32_e32 v18, v1, v21, vcc
	v_mul_f32_e32 v17, v18, v17
	v_mul_f32_e32 v16, v16, v19
	v_and_b32_sdwa v18, v16, v15 dst_sel:DWORD dst_unused:UNUSED_PAD src0_sel:WORD_1 src1_sel:DWORD
	v_and_b32_sdwa v19, v17, v15 dst_sel:DWORD dst_unused:UNUSED_PAD src0_sel:WORD_1 src1_sel:DWORD
	v_add3_u32 v18, v16, v18, s19
	v_add3_u32 v19, v17, v19, s19
	v_lshrrev_b32_e32 v19, 16, v19
	v_lshrrev_b32_e32 v18, 16, v18
	v_cmp_o_f32_e32 vcc, v16, v16
	v_cmp_o_f32_e64 s[0:1], v17, v17
	v_cndmask_b32_e64 v16, v14, v19, s[0:1]
	v_cndmask_b32_e32 v17, v14, v18, vcc
	v_perm_b32 v16, v17, v16, s20
	global_store_dword v[6:7], v16, off
	v_add_co_u32_e32 v6, vcc, 4, v6
	v_addc_co_u32_e32 v7, vcc, 0, v7, vcc
	s_andn2_b64 exec, exec, s[6:7]
	s_cbranch_execnz .LBB14_3
; %bb.4:
	s_or_b64 exec, exec, s[6:7]
	v_cmp_ne_u64_e32 vcc, v[2:3], v[4:5]
	v_add_co_u32_e64 v0, s[0:1], v4, v0
	v_addc_co_u32_e64 v1, s[0:1], 0, v5, s[0:1]
	s_orn2_b64 s[0:1], vcc, exec
.LBB14_5:
	s_or_b64 exec, exec, s[16:17]
	s_and_b64 exec, exec, s[0:1]
	s_cbranch_execz .LBB14_8
; %bb.6:
	s_add_u32 s2, s10, s14
	s_addc_u32 s7, s11, s15
	s_lshl_b64 s[0:1], s[12:13], 1
	s_add_u32 s6, s2, s0
	s_addc_u32 s10, s7, s1
	s_lshl_b64 s[0:1], s[4:5], 1
	s_add_u32 s4, s8, s0
	s_addc_u32 s8, s9, s1
	v_lshlrev_b64 v[2:3], 1, v[0:1]
	s_lshl_b32 s5, s18, 1
	s_mov_b64 s[0:1], 0
	v_mov_b32_e32 v4, s7
	v_mov_b32_e32 v5, s10
	s_movk_i32 s7, 0x7fff
	v_mov_b32_e32 v6, 0x7fc00000
	v_mov_b32_e32 v7, 0x7fc0
	v_mov_b32_e32 v8, s8
.LBB14_7:                               ; =>This Inner Loop Header: Depth=1
	v_add_co_u32_e32 v9, vcc, s2, v2
	v_addc_co_u32_e32 v10, vcc, v4, v3, vcc
	v_add_co_u32_e32 v11, vcc, s6, v2
	v_addc_co_u32_e32 v12, vcc, v5, v3, vcc
	global_load_ushort v13, v[9:10], off
	global_load_ushort v14, v[11:12], off
	v_add_co_u32_e32 v9, vcc, s4, v2
	v_addc_co_u32_e32 v10, vcc, v8, v3, vcc
	v_add_co_u32_e32 v0, vcc, s18, v0
	v_addc_co_u32_e32 v1, vcc, 0, v1, vcc
	;; [unrolled: 2-line block ×3, first 2 shown]
	v_cmp_le_i64_e32 vcc, s[12:13], v[0:1]
	s_or_b64 s[0:1], vcc, s[0:1]
	s_waitcnt vmcnt(1)
	v_lshlrev_b32_e32 v11, 16, v13
	v_cmp_lt_f32_e32 vcc, s3, v11
	v_cndmask_b32_e32 v11, 0, v11, vcc
	v_lshrrev_b32_e32 v13, 16, v11
	v_and_or_b32 v13, v13, 1, v11
	v_add_u32_e32 v13, 0x7fff, v13
	v_and_b32_e32 v13, 0xffff0000, v13
	v_cmp_o_f32_e32 vcc, v11, v11
	s_waitcnt vmcnt(0)
	v_lshlrev_b32_e32 v12, 16, v14
	v_cndmask_b32_e32 v11, v6, v13, vcc
	v_mul_f32_e32 v11, v11, v12
	v_bfe_u32 v12, v11, 16, 1
	v_add3_u32 v12, v11, v12, s7
	v_lshrrev_b32_e32 v12, 16, v12
	v_cmp_o_f32_e32 vcc, v11, v11
	v_cndmask_b32_e32 v11, v7, v12, vcc
	global_store_short v[9:10], v11, off
	s_andn2_b64 exec, exec, s[0:1]
	s_cbranch_execnz .LBB14_7
.LBB14_8:
	s_endpgm
	.section	.rodata,"a",@progbits
	.p2align	6, 0x0
	.amdhsa_kernel _ZN4vllm29act_and_mul_kernel_with_paramIN3c108BFloat16ETnPFT_RKS3_fEXadL_ZNS_14fatrelu_kernelIS2_EES3_S5_fEEEEvPS3_PS4_if
		.amdhsa_group_segment_fixed_size 0
		.amdhsa_private_segment_fixed_size 0
		.amdhsa_kernarg_size 280
		.amdhsa_user_sgpr_count 6
		.amdhsa_user_sgpr_private_segment_buffer 1
		.amdhsa_user_sgpr_dispatch_ptr 0
		.amdhsa_user_sgpr_queue_ptr 0
		.amdhsa_user_sgpr_kernarg_segment_ptr 1
		.amdhsa_user_sgpr_dispatch_id 0
		.amdhsa_user_sgpr_flat_scratch_init 0
		.amdhsa_user_sgpr_private_segment_size 0
		.amdhsa_uses_dynamic_stack 0
		.amdhsa_system_sgpr_private_segment_wavefront_offset 0
		.amdhsa_system_sgpr_workgroup_id_x 1
		.amdhsa_system_sgpr_workgroup_id_y 0
		.amdhsa_system_sgpr_workgroup_id_z 0
		.amdhsa_system_sgpr_workgroup_info 0
		.amdhsa_system_vgpr_workitem_id 0
		.amdhsa_next_free_vgpr 22
		.amdhsa_next_free_sgpr 22
		.amdhsa_reserve_vcc 1
		.amdhsa_reserve_flat_scratch 0
		.amdhsa_float_round_mode_32 0
		.amdhsa_float_round_mode_16_64 0
		.amdhsa_float_denorm_mode_32 3
		.amdhsa_float_denorm_mode_16_64 3
		.amdhsa_dx10_clamp 1
		.amdhsa_ieee_mode 1
		.amdhsa_fp16_overflow 0
		.amdhsa_exception_fp_ieee_invalid_op 0
		.amdhsa_exception_fp_denorm_src 0
		.amdhsa_exception_fp_ieee_div_zero 0
		.amdhsa_exception_fp_ieee_overflow 0
		.amdhsa_exception_fp_ieee_underflow 0
		.amdhsa_exception_fp_ieee_inexact 0
		.amdhsa_exception_int_div_zero 0
	.end_amdhsa_kernel
	.section	.text._ZN4vllm29act_and_mul_kernel_with_paramIN3c108BFloat16ETnPFT_RKS3_fEXadL_ZNS_14fatrelu_kernelIS2_EES3_S5_fEEEEvPS3_PS4_if,"axG",@progbits,_ZN4vllm29act_and_mul_kernel_with_paramIN3c108BFloat16ETnPFT_RKS3_fEXadL_ZNS_14fatrelu_kernelIS2_EES3_S5_fEEEEvPS3_PS4_if,comdat
.Lfunc_end14:
	.size	_ZN4vllm29act_and_mul_kernel_with_paramIN3c108BFloat16ETnPFT_RKS3_fEXadL_ZNS_14fatrelu_kernelIS2_EES3_S5_fEEEEvPS3_PS4_if, .Lfunc_end14-_ZN4vllm29act_and_mul_kernel_with_paramIN3c108BFloat16ETnPFT_RKS3_fEXadL_ZNS_14fatrelu_kernelIS2_EES3_S5_fEEEEvPS3_PS4_if
                                        ; -- End function
	.set _ZN4vllm29act_and_mul_kernel_with_paramIN3c108BFloat16ETnPFT_RKS3_fEXadL_ZNS_14fatrelu_kernelIS2_EES3_S5_fEEEEvPS3_PS4_if.num_vgpr, 22
	.set _ZN4vllm29act_and_mul_kernel_with_paramIN3c108BFloat16ETnPFT_RKS3_fEXadL_ZNS_14fatrelu_kernelIS2_EES3_S5_fEEEEvPS3_PS4_if.num_agpr, 0
	.set _ZN4vllm29act_and_mul_kernel_with_paramIN3c108BFloat16ETnPFT_RKS3_fEXadL_ZNS_14fatrelu_kernelIS2_EES3_S5_fEEEEvPS3_PS4_if.numbered_sgpr, 22
	.set _ZN4vllm29act_and_mul_kernel_with_paramIN3c108BFloat16ETnPFT_RKS3_fEXadL_ZNS_14fatrelu_kernelIS2_EES3_S5_fEEEEvPS3_PS4_if.num_named_barrier, 0
	.set _ZN4vllm29act_and_mul_kernel_with_paramIN3c108BFloat16ETnPFT_RKS3_fEXadL_ZNS_14fatrelu_kernelIS2_EES3_S5_fEEEEvPS3_PS4_if.private_seg_size, 0
	.set _ZN4vllm29act_and_mul_kernel_with_paramIN3c108BFloat16ETnPFT_RKS3_fEXadL_ZNS_14fatrelu_kernelIS2_EES3_S5_fEEEEvPS3_PS4_if.uses_vcc, 1
	.set _ZN4vllm29act_and_mul_kernel_with_paramIN3c108BFloat16ETnPFT_RKS3_fEXadL_ZNS_14fatrelu_kernelIS2_EES3_S5_fEEEEvPS3_PS4_if.uses_flat_scratch, 0
	.set _ZN4vllm29act_and_mul_kernel_with_paramIN3c108BFloat16ETnPFT_RKS3_fEXadL_ZNS_14fatrelu_kernelIS2_EES3_S5_fEEEEvPS3_PS4_if.has_dyn_sized_stack, 0
	.set _ZN4vllm29act_and_mul_kernel_with_paramIN3c108BFloat16ETnPFT_RKS3_fEXadL_ZNS_14fatrelu_kernelIS2_EES3_S5_fEEEEvPS3_PS4_if.has_recursion, 0
	.set _ZN4vllm29act_and_mul_kernel_with_paramIN3c108BFloat16ETnPFT_RKS3_fEXadL_ZNS_14fatrelu_kernelIS2_EES3_S5_fEEEEvPS3_PS4_if.has_indirect_call, 0
	.section	.AMDGPU.csdata,"",@progbits
; Kernel info:
; codeLenInByte = 892
; TotalNumSgprs: 26
; NumVgprs: 22
; ScratchSize: 0
; MemoryBound: 0
; FloatMode: 240
; IeeeMode: 1
; LDSByteSize: 0 bytes/workgroup (compile time only)
; SGPRBlocks: 3
; VGPRBlocks: 5
; NumSGPRsForWavesPerEU: 26
; NumVGPRsForWavesPerEU: 22
; Occupancy: 10
; WaveLimiterHint : 0
; COMPUTE_PGM_RSRC2:SCRATCH_EN: 0
; COMPUTE_PGM_RSRC2:USER_SGPR: 6
; COMPUTE_PGM_RSRC2:TRAP_HANDLER: 0
; COMPUTE_PGM_RSRC2:TGID_X_EN: 1
; COMPUTE_PGM_RSRC2:TGID_Y_EN: 0
; COMPUTE_PGM_RSRC2:TGID_Z_EN: 0
; COMPUTE_PGM_RSRC2:TIDIG_COMP_CNT: 0
	.section	.text._ZN4vllm24swigluoai_and_mul_kernelIfTnPFT_RKS1_S3_ffEXadL_ZNS_17swigluoai_and_mulIfEES1_S3_S3_ffEEEEvPS1_PS2_iff,"axG",@progbits,_ZN4vllm24swigluoai_and_mul_kernelIfTnPFT_RKS1_S3_ffEXadL_ZNS_17swigluoai_and_mulIfEES1_S3_S3_ffEEEEvPS1_PS2_iff,comdat
	.protected	_ZN4vllm24swigluoai_and_mul_kernelIfTnPFT_RKS1_S3_ffEXadL_ZNS_17swigluoai_and_mulIfEES1_S3_S3_ffEEEEvPS1_PS2_iff ; -- Begin function _ZN4vllm24swigluoai_and_mul_kernelIfTnPFT_RKS1_S3_ffEXadL_ZNS_17swigluoai_and_mulIfEES1_S3_S3_ffEEEEvPS1_PS2_iff
	.globl	_ZN4vllm24swigluoai_and_mul_kernelIfTnPFT_RKS1_S3_ffEXadL_ZNS_17swigluoai_and_mulIfEES1_S3_S3_ffEEEEvPS1_PS2_iff
	.p2align	8
	.type	_ZN4vllm24swigluoai_and_mul_kernelIfTnPFT_RKS1_S3_ffEXadL_ZNS_17swigluoai_and_mulIfEES1_S3_S3_ffEEEEvPS1_PS2_iff,@function
_ZN4vllm24swigluoai_and_mul_kernelIfTnPFT_RKS1_S3_ffEXadL_ZNS_17swigluoai_and_mulIfEES1_S3_S3_ffEEEEvPS1_PS2_iff: ; @_ZN4vllm24swigluoai_and_mul_kernelIfTnPFT_RKS1_S3_ffEXadL_ZNS_17swigluoai_and_mulIfEES1_S3_S3_ffEEEEvPS1_PS2_iff
; %bb.0:
	s_load_dwordx4 s[8:11], s[4:5], 0x10
	s_waitcnt lgkmcnt(0)
	v_cmp_gt_i32_e32 vcc, s8, v0
	s_and_saveexec_b64 s[0:1], vcc
	s_cbranch_execz .LBB15_3
; %bb.1:
	s_load_dwordx4 s[12:15], s[4:5], 0x0
	s_load_dword s7, s[4:5], 0x2c
	s_ashr_i32 s3, s8, 31
	s_mul_hi_u32 s0, s6, s8
	s_mul_i32 s1, s6, s3
	s_add_i32 s1, s0, s1
	s_mul_i32 s0, s6, s8
	s_lshl_b64 s[4:5], s[0:1], 3
	s_waitcnt lgkmcnt(0)
	s_and_b32 s6, s7, 0xffff
	s_lshl_b64 s[0:1], s[0:1], 2
	s_add_u32 s0, s12, s0
	v_lshlrev_b32_e32 v2, 2, v0
	s_addc_u32 s1, s13, s1
	s_lshl_b32 s7, s6, 2
	v_mov_b32_e32 v3, s1
	v_add_co_u32_e32 v2, vcc, s0, v2
	s_add_u32 s0, s14, s4
	v_addc_co_u32_e32 v3, vcc, 0, v3, vcc
	v_lshlrev_b32_e32 v4, 3, v0
	s_addc_u32 s1, s15, s5
	v_mov_b32_e32 v5, s1
	v_add_co_u32_e32 v4, vcc, s0, v4
	v_addc_co_u32_e32 v5, vcc, 0, v5, vcc
	v_add_co_u32_e32 v4, vcc, 4, v4
	s_mov_b32 s2, s8
	v_mov_b32_e32 v1, 0
	v_addc_co_u32_e32 v5, vcc, 0, v5, vcc
	s_lshl_b32 s8, s6, 3
	s_mov_b64 s[4:5], 0
	v_mov_b32_e32 v6, s10
	s_mov_b32 s11, 0x3fb8aa3b
	s_mov_b32 s12, 0xc2ce8ed0
	;; [unrolled: 1-line block ×3, first 2 shown]
	v_mov_b32_e32 v7, 0x7f800000
.LBB15_2:                               ; =>This Inner Loop Header: Depth=1
	global_load_dwordx2 v[8:9], v[4:5], off offset:-4
	s_waitcnt vmcnt(0)
	v_cmp_lt_f32_e32 vcc, s10, v8
	v_cndmask_b32_e32 v8, v8, v6, vcc
	v_mul_f32_e64 v10, s9, -v8
	v_mul_f32_e32 v11, 0x3fb8aa3b, v10
	v_fma_f32 v12, v10, s11, -v11
	v_rndne_f32_e32 v13, v11
	v_fmac_f32_e32 v12, 0x32a5705f, v10
	v_sub_f32_e32 v11, v11, v13
	v_add_f32_e32 v11, v11, v12
	v_cvt_i32_f32_e32 v13, v13
	v_exp_f32_e32 v11, v11
	v_cmp_ngt_f32_e32 vcc, s12, v10
	v_ldexp_f32 v11, v11, v13
	v_cndmask_b32_e32 v11, 0, v11, vcc
	v_cmp_nlt_f32_e32 vcc, s13, v10
	v_cndmask_b32_e32 v10, v7, v11, vcc
	v_add_f32_e32 v10, 1.0, v10
	v_div_scale_f32 v11, s[0:1], v10, v10, 1.0
	v_div_scale_f32 v12, vcc, 1.0, v10, 1.0
	v_add_co_u32_e64 v0, s[0:1], s6, v0
	v_addc_co_u32_e64 v1, s[0:1], 0, v1, s[0:1]
	v_cmp_lt_f32_e64 s[0:1], v9, -s10
	v_rcp_f32_e32 v13, v11
	v_fma_f32 v14, -v11, v13, 1.0
	v_fmac_f32_e32 v13, v14, v13
	v_mul_f32_e32 v14, v12, v13
	v_fma_f32 v15, -v11, v14, v12
	v_fmac_f32_e32 v14, v15, v13
	v_fma_f32 v11, -v11, v14, v12
	v_div_fmas_f32 v11, v11, v13, v14
	v_add_co_u32_e32 v4, vcc, s8, v4
	v_addc_co_u32_e32 v5, vcc, 0, v5, vcc
	v_cmp_le_i64_e32 vcc, s[2:3], v[0:1]
	v_cndmask_b32_e64 v12, v9, -v6, s[0:1]
	s_or_b64 s[4:5], vcc, s[4:5]
	v_cmp_lt_f32_e32 vcc, s10, v9
	v_cndmask_b32_e32 v9, v12, v6, vcc
	v_add_f32_e32 v9, 1.0, v9
	v_div_fixup_f32 v10, v11, v10, 1.0
	v_mul_f32_e32 v8, v8, v10
	v_mul_f32_e32 v8, v9, v8
	global_store_dword v[2:3], v8, off
	v_add_co_u32_e32 v2, vcc, s7, v2
	v_addc_co_u32_e32 v3, vcc, 0, v3, vcc
	s_andn2_b64 exec, exec, s[4:5]
	s_cbranch_execnz .LBB15_2
.LBB15_3:
	s_endpgm
	.section	.rodata,"a",@progbits
	.p2align	6, 0x0
	.amdhsa_kernel _ZN4vllm24swigluoai_and_mul_kernelIfTnPFT_RKS1_S3_ffEXadL_ZNS_17swigluoai_and_mulIfEES1_S3_S3_ffEEEEvPS1_PS2_iff
		.amdhsa_group_segment_fixed_size 0
		.amdhsa_private_segment_fixed_size 0
		.amdhsa_kernarg_size 288
		.amdhsa_user_sgpr_count 6
		.amdhsa_user_sgpr_private_segment_buffer 1
		.amdhsa_user_sgpr_dispatch_ptr 0
		.amdhsa_user_sgpr_queue_ptr 0
		.amdhsa_user_sgpr_kernarg_segment_ptr 1
		.amdhsa_user_sgpr_dispatch_id 0
		.amdhsa_user_sgpr_flat_scratch_init 0
		.amdhsa_user_sgpr_private_segment_size 0
		.amdhsa_uses_dynamic_stack 0
		.amdhsa_system_sgpr_private_segment_wavefront_offset 0
		.amdhsa_system_sgpr_workgroup_id_x 1
		.amdhsa_system_sgpr_workgroup_id_y 0
		.amdhsa_system_sgpr_workgroup_id_z 0
		.amdhsa_system_sgpr_workgroup_info 0
		.amdhsa_system_vgpr_workitem_id 0
		.amdhsa_next_free_vgpr 16
		.amdhsa_next_free_sgpr 16
		.amdhsa_reserve_vcc 1
		.amdhsa_reserve_flat_scratch 0
		.amdhsa_float_round_mode_32 0
		.amdhsa_float_round_mode_16_64 0
		.amdhsa_float_denorm_mode_32 3
		.amdhsa_float_denorm_mode_16_64 3
		.amdhsa_dx10_clamp 1
		.amdhsa_ieee_mode 1
		.amdhsa_fp16_overflow 0
		.amdhsa_exception_fp_ieee_invalid_op 0
		.amdhsa_exception_fp_denorm_src 0
		.amdhsa_exception_fp_ieee_div_zero 0
		.amdhsa_exception_fp_ieee_overflow 0
		.amdhsa_exception_fp_ieee_underflow 0
		.amdhsa_exception_fp_ieee_inexact 0
		.amdhsa_exception_int_div_zero 0
	.end_amdhsa_kernel
	.section	.text._ZN4vllm24swigluoai_and_mul_kernelIfTnPFT_RKS1_S3_ffEXadL_ZNS_17swigluoai_and_mulIfEES1_S3_S3_ffEEEEvPS1_PS2_iff,"axG",@progbits,_ZN4vllm24swigluoai_and_mul_kernelIfTnPFT_RKS1_S3_ffEXadL_ZNS_17swigluoai_and_mulIfEES1_S3_S3_ffEEEEvPS1_PS2_iff,comdat
.Lfunc_end15:
	.size	_ZN4vllm24swigluoai_and_mul_kernelIfTnPFT_RKS1_S3_ffEXadL_ZNS_17swigluoai_and_mulIfEES1_S3_S3_ffEEEEvPS1_PS2_iff, .Lfunc_end15-_ZN4vllm24swigluoai_and_mul_kernelIfTnPFT_RKS1_S3_ffEXadL_ZNS_17swigluoai_and_mulIfEES1_S3_S3_ffEEEEvPS1_PS2_iff
                                        ; -- End function
	.set _ZN4vllm24swigluoai_and_mul_kernelIfTnPFT_RKS1_S3_ffEXadL_ZNS_17swigluoai_and_mulIfEES1_S3_S3_ffEEEEvPS1_PS2_iff.num_vgpr, 16
	.set _ZN4vllm24swigluoai_and_mul_kernelIfTnPFT_RKS1_S3_ffEXadL_ZNS_17swigluoai_and_mulIfEES1_S3_S3_ffEEEEvPS1_PS2_iff.num_agpr, 0
	.set _ZN4vllm24swigluoai_and_mul_kernelIfTnPFT_RKS1_S3_ffEXadL_ZNS_17swigluoai_and_mulIfEES1_S3_S3_ffEEEEvPS1_PS2_iff.numbered_sgpr, 16
	.set _ZN4vllm24swigluoai_and_mul_kernelIfTnPFT_RKS1_S3_ffEXadL_ZNS_17swigluoai_and_mulIfEES1_S3_S3_ffEEEEvPS1_PS2_iff.num_named_barrier, 0
	.set _ZN4vllm24swigluoai_and_mul_kernelIfTnPFT_RKS1_S3_ffEXadL_ZNS_17swigluoai_and_mulIfEES1_S3_S3_ffEEEEvPS1_PS2_iff.private_seg_size, 0
	.set _ZN4vllm24swigluoai_and_mul_kernelIfTnPFT_RKS1_S3_ffEXadL_ZNS_17swigluoai_and_mulIfEES1_S3_S3_ffEEEEvPS1_PS2_iff.uses_vcc, 1
	.set _ZN4vllm24swigluoai_and_mul_kernelIfTnPFT_RKS1_S3_ffEXadL_ZNS_17swigluoai_and_mulIfEES1_S3_S3_ffEEEEvPS1_PS2_iff.uses_flat_scratch, 0
	.set _ZN4vllm24swigluoai_and_mul_kernelIfTnPFT_RKS1_S3_ffEXadL_ZNS_17swigluoai_and_mulIfEES1_S3_S3_ffEEEEvPS1_PS2_iff.has_dyn_sized_stack, 0
	.set _ZN4vllm24swigluoai_and_mul_kernelIfTnPFT_RKS1_S3_ffEXadL_ZNS_17swigluoai_and_mulIfEES1_S3_S3_ffEEEEvPS1_PS2_iff.has_recursion, 0
	.set _ZN4vllm24swigluoai_and_mul_kernelIfTnPFT_RKS1_S3_ffEXadL_ZNS_17swigluoai_and_mulIfEES1_S3_S3_ffEEEEvPS1_PS2_iff.has_indirect_call, 0
	.section	.AMDGPU.csdata,"",@progbits
; Kernel info:
; codeLenInByte = 460
; TotalNumSgprs: 20
; NumVgprs: 16
; ScratchSize: 0
; MemoryBound: 0
; FloatMode: 240
; IeeeMode: 1
; LDSByteSize: 0 bytes/workgroup (compile time only)
; SGPRBlocks: 2
; VGPRBlocks: 3
; NumSGPRsForWavesPerEU: 20
; NumVGPRsForWavesPerEU: 16
; Occupancy: 10
; WaveLimiterHint : 0
; COMPUTE_PGM_RSRC2:SCRATCH_EN: 0
; COMPUTE_PGM_RSRC2:USER_SGPR: 6
; COMPUTE_PGM_RSRC2:TRAP_HANDLER: 0
; COMPUTE_PGM_RSRC2:TGID_X_EN: 1
; COMPUTE_PGM_RSRC2:TGID_Y_EN: 0
; COMPUTE_PGM_RSRC2:TGID_Z_EN: 0
; COMPUTE_PGM_RSRC2:TIDIG_COMP_CNT: 0
	.section	.text._ZN4vllm24swigluoai_and_mul_kernelIN3c104HalfETnPFT_RKS3_S5_ffEXadL_ZNS_17swigluoai_and_mulIS2_EES3_S5_S5_ffEEEEvPS3_PS4_iff,"axG",@progbits,_ZN4vllm24swigluoai_and_mul_kernelIN3c104HalfETnPFT_RKS3_S5_ffEXadL_ZNS_17swigluoai_and_mulIS2_EES3_S5_S5_ffEEEEvPS3_PS4_iff,comdat
	.protected	_ZN4vllm24swigluoai_and_mul_kernelIN3c104HalfETnPFT_RKS3_S5_ffEXadL_ZNS_17swigluoai_and_mulIS2_EES3_S5_S5_ffEEEEvPS3_PS4_iff ; -- Begin function _ZN4vllm24swigluoai_and_mul_kernelIN3c104HalfETnPFT_RKS3_S5_ffEXadL_ZNS_17swigluoai_and_mulIS2_EES3_S5_S5_ffEEEEvPS3_PS4_iff
	.globl	_ZN4vllm24swigluoai_and_mul_kernelIN3c104HalfETnPFT_RKS3_S5_ffEXadL_ZNS_17swigluoai_and_mulIS2_EES3_S5_S5_ffEEEEvPS3_PS4_iff
	.p2align	8
	.type	_ZN4vllm24swigluoai_and_mul_kernelIN3c104HalfETnPFT_RKS3_S5_ffEXadL_ZNS_17swigluoai_and_mulIS2_EES3_S5_S5_ffEEEEvPS3_PS4_iff,@function
_ZN4vllm24swigluoai_and_mul_kernelIN3c104HalfETnPFT_RKS3_S5_ffEXadL_ZNS_17swigluoai_and_mulIS2_EES3_S5_S5_ffEEEEvPS3_PS4_iff: ; @_ZN4vllm24swigluoai_and_mul_kernelIN3c104HalfETnPFT_RKS3_S5_ffEXadL_ZNS_17swigluoai_and_mulIS2_EES3_S5_S5_ffEEEEvPS3_PS4_iff
; %bb.0:
	s_load_dwordx4 s[8:11], s[4:5], 0x10
	s_waitcnt lgkmcnt(0)
	v_cmp_gt_i32_e32 vcc, s8, v0
	s_and_saveexec_b64 s[0:1], vcc
	s_cbranch_execz .LBB16_8
; %bb.1:
	v_mov_b32_e32 v1, 0
	s_ashr_i32 s17, s8, 31
	s_mov_b32 s16, s8
	v_add_u32_e32 v2, 1, v0
	v_mov_b32_e32 v3, v1
	s_load_dwordx4 s[12:15], s[4:5], 0x0
	s_load_dword s1, s[4:5], 0x2c
	v_cmp_lt_i64_e32 vcc, s[16:17], v[2:3]
	v_mov_b32_e32 v4, s17
	v_cndmask_b32_e64 v3, v4, 0, vcc
	v_mov_b32_e32 v4, s8
	s_mul_hi_u32 s0, s6, s8
	s_mul_i32 s2, s6, s17
	v_cndmask_b32_e32 v2, v4, v2, vcc
	s_add_i32 s7, s0, s2
	s_mul_i32 s6, s6, s8
	v_sub_co_u32_e32 v5, vcc, v2, v0
	s_lshl_b64 s[4:5], s[6:7], 2
	s_waitcnt lgkmcnt(0)
	s_and_b32 s11, s1, 0xffff
	v_subbrev_co_u32_e32 v6, vcc, 0, v3, vcc
	v_cmp_lt_u64_e32 vcc, 1, v[5:6]
	s_cmp_eq_u32 s11, 1
	s_cselect_b64 s[0:1], -1, 0
	s_and_b64 s[2:3], vcc, s[0:1]
	s_mov_b64 s[0:1], -1
	s_and_saveexec_b64 s[18:19], s[2:3]
	s_cbranch_execz .LBB16_5
; %bb.2:
	s_add_u32 s8, s14, s4
	s_addc_u32 s2, s15, s5
	s_lshl_b64 s[0:1], s[6:7], 1
	s_add_u32 s0, s12, s0
	v_lshlrev_b64 v[9:10], 1, v[0:1]
	s_addc_u32 s1, s13, s1
	v_mov_b32_e32 v8, v6
	v_add_u32_e32 v2, 1, v0
	v_mov_b32_e32 v3, v1
	v_mov_b32_e32 v4, s1
	v_add_co_u32_e32 v9, vcc, s0, v9
	v_and_b32_e32 v7, -2, v5
	s_xor_b32 s22, s10, 0x80000000
	v_addc_co_u32_e32 v10, vcc, v4, v10, vcc
	v_mov_b32_e32 v12, v8
	v_mov_b32_e32 v4, v3
	s_mov_b32 s23, s22
	s_mov_b32 s24, s10
	;; [unrolled: 1-line block ×3, first 2 shown]
	s_mov_b64 s[20:21], 0
	v_mov_b32_e32 v13, s2
	s_mov_b32 s26, 0x3fb8aa3b
	s_mov_b32 s27, 0xc2ce8ed0
	;; [unrolled: 1-line block ×3, first 2 shown]
	v_mov_b32_e32 v14, s22
	v_mov_b32_e32 v15, s22
	;; [unrolled: 1-line block ×9, first 2 shown]
.LBB16_3:                               ; =>This Inner Loop Header: Depth=1
	v_lshlrev_b64 v[19:20], 2, v[1:2]
	v_lshlrev_b64 v[21:22], 2, v[3:4]
	v_add_co_u32_e32 v19, vcc, s8, v19
	v_addc_co_u32_e32 v20, vcc, v13, v20, vcc
	global_load_dword v19, v[19:20], off
	v_add_co_u32_e32 v24, vcc, s8, v21
	v_addc_co_u32_e32 v25, vcc, v13, v22, vcc
	v_add_co_u32_e64 v11, s[2:3], -2, v11
	s_waitcnt vmcnt(0)
	v_cvt_f32_f16_e32 v20, v19
	v_cvt_f32_f16_sdwa v19, v19 dst_sel:DWORD dst_unused:UNUSED_PAD src0_sel:WORD_1
	v_cmp_lt_f32_e32 vcc, s10, v20
	v_cndmask_b32_e32 v20, v20, v16, vcc
	v_mul_f32_e64 v21, s25, -v20
	v_mul_f32_e32 v22, 0x3fb8aa3b, v21
	v_fma_f32 v23, v21, s26, -v22
	v_cmp_ngt_f32_e32 vcc, s27, v21
	v_cmp_nlt_f32_e64 s[0:1], s28, v21
	v_fmac_f32_e32 v23, 0x32a5705f, v21
	v_rndne_f32_e32 v21, v22
	v_sub_f32_e32 v22, v22, v21
	v_add_f32_e32 v22, v22, v23
	v_cvt_i32_f32_e32 v21, v21
	v_exp_f32_e32 v22, v22
	v_ldexp_f32 v21, v22, v21
	v_cndmask_b32_e32 v21, 0, v21, vcc
	v_cndmask_b32_e64 v21, v18, v21, s[0:1]
	v_add_f32_e32 v21, 1.0, v21
	v_div_scale_f32 v22, s[0:1], v21, v21, 1.0
	v_rcp_f32_e32 v23, v22
	v_fma_f32 v26, -v22, v23, 1.0
	v_fmac_f32_e32 v23, v26, v23
	v_div_scale_f32 v26, vcc, 1.0, v21, 1.0
	v_mul_f32_e32 v27, v26, v23
	v_fma_f32 v28, -v22, v27, v26
	v_fmac_f32_e32 v27, v28, v23
	v_fma_f32 v22, -v22, v27, v26
	v_div_fmas_f32 v23, v22, v23, v27
	global_load_dword v22, v[24:25], off
	v_div_fixup_f32 v21, v23, v21, 1.0
	v_mul_f32_e32 v20, v20, v21
	s_waitcnt vmcnt(0)
	v_cvt_f32_f16_e32 v24, v22
	v_cmp_lt_f32_e32 vcc, s24, v24
	v_cndmask_b32_e32 v24, v24, v17, vcc
	v_mul_f32_e64 v25, s9, -v24
	v_mul_f32_e32 v26, 0x3fb8aa3b, v25
	v_fma_f32 v27, v25, s26, -v26
	v_cmp_ngt_f32_e32 vcc, s27, v25
	v_cmp_nlt_f32_e64 s[0:1], s28, v25
	v_fmac_f32_e32 v27, 0x32a5705f, v25
	v_rndne_f32_e32 v25, v26
	v_sub_f32_e32 v26, v26, v25
	v_add_f32_e32 v26, v26, v27
	v_cvt_i32_f32_e32 v25, v25
	v_exp_f32_e32 v26, v26
	v_ldexp_f32 v25, v26, v25
	v_cndmask_b32_e32 v25, 0, v25, vcc
	v_cndmask_b32_e64 v25, v18, v25, s[0:1]
	v_add_f32_e32 v25, 1.0, v25
	v_div_scale_f32 v26, s[0:1], v25, v25, 1.0
	v_cmp_lt_f32_e64 s[0:1], s10, v19
	v_rcp_f32_e32 v27, v26
	v_fma_f32 v28, -v26, v27, 1.0
	v_fmac_f32_e32 v27, v28, v27
	v_div_scale_f32 v28, vcc, 1.0, v25, 1.0
	v_mul_f32_e32 v29, v28, v27
	v_fma_f32 v30, -v26, v29, v28
	v_fmac_f32_e32 v29, v30, v27
	v_fma_f32 v26, -v26, v29, v28
	v_div_fmas_f32 v26, v26, v27, v29
	v_cmp_gt_f32_e32 vcc, s22, v19
	v_cndmask_b32_e32 v19, v19, v15, vcc
	v_cndmask_b32_e64 v19, v19, v16, s[0:1]
	v_add_f32_e32 v19, 1.0, v19
	v_fma_mixlo_f16 v19, v19, v20, 0
	v_add_co_u32_e32 v3, vcc, 2, v3
	v_add_co_u32_e64 v1, s[0:1], 2, v1
	v_cvt_f32_f16_sdwa v20, v22 dst_sel:DWORD dst_unused:UNUSED_PAD src0_sel:WORD_1
	v_addc_co_u32_e32 v4, vcc, 0, v4, vcc
	v_addc_co_u32_e64 v2, vcc, 0, v2, s[0:1]
	v_addc_co_u32_e64 v12, vcc, -1, v12, s[2:3]
	v_cmp_eq_u64_e32 vcc, 0, v[11:12]
	v_cmp_lt_f32_e64 s[0:1], s24, v20
	s_or_b64 s[20:21], vcc, s[20:21]
	v_cmp_gt_f32_e32 vcc, s23, v20
	v_cndmask_b32_e32 v20, v20, v14, vcc
	v_div_fixup_f32 v23, v26, v25, 1.0
	v_cndmask_b32_e64 v20, v20, v17, s[0:1]
	v_mul_f32_e32 v21, v24, v23
	v_add_f32_e32 v20, 1.0, v20
	v_fma_mixhi_f16 v19, v20, v21, 0
	global_store_dword v[9:10], v19, off
	v_add_co_u32_e32 v9, vcc, 4, v9
	v_addc_co_u32_e32 v10, vcc, 0, v10, vcc
	s_andn2_b64 exec, exec, s[20:21]
	s_cbranch_execnz .LBB16_3
; %bb.4:
	s_or_b64 exec, exec, s[20:21]
	v_cmp_ne_u64_e32 vcc, v[5:6], v[7:8]
	v_add_co_u32_e64 v0, s[0:1], v7, v0
	v_addc_co_u32_e64 v1, s[0:1], 0, v8, s[0:1]
	s_orn2_b64 s[0:1], vcc, exec
.LBB16_5:
	s_or_b64 exec, exec, s[18:19]
	s_and_b64 exec, exec, s[0:1]
	s_cbranch_execz .LBB16_8
; %bb.6:
	s_lshl_b64 s[0:1], s[6:7], 1
	v_lshlrev_b64 v[2:3], 1, v[0:1]
	s_add_u32 s0, s12, s0
	s_addc_u32 s1, s13, s1
	v_mov_b32_e32 v4, s1
	v_add_co_u32_e32 v2, vcc, s0, v2
	s_lshl_b32 s6, s11, 1
	v_addc_co_u32_e32 v3, vcc, v4, v3, vcc
	v_lshlrev_b64 v[4:5], 2, v[0:1]
	s_add_u32 s0, s14, s4
	s_addc_u32 s1, s15, s5
	v_mov_b32_e32 v6, s1
	v_add_co_u32_e32 v4, vcc, s0, v4
	v_addc_co_u32_e32 v5, vcc, v6, v5, vcc
	v_add_co_u32_e32 v4, vcc, 2, v4
	v_addc_co_u32_e32 v5, vcc, 0, v5, vcc
	s_lshl_b32 s4, s11, 2
	s_mov_b64 s[2:3], 0
	v_mov_b32_e32 v6, s10
	s_mov_b32 s5, 0x3fb8aa3b
	s_mov_b32 s7, 0xc2ce8ed0
	;; [unrolled: 1-line block ×3, first 2 shown]
	v_mov_b32_e32 v7, 0x7f800000
.LBB16_7:                               ; =>This Inner Loop Header: Depth=1
	global_load_dword v8, v[4:5], off offset:-2
	v_add_co_u32_e32 v0, vcc, s11, v0
	v_addc_co_u32_e32 v1, vcc, 0, v1, vcc
	s_waitcnt vmcnt(0)
	v_cvt_f32_f16_e32 v9, v8
	v_cvt_f32_f16_sdwa v8, v8 dst_sel:DWORD dst_unused:UNUSED_PAD src0_sel:WORD_1
	v_cmp_lt_f32_e32 vcc, s10, v9
	v_cndmask_b32_e32 v9, v9, v6, vcc
	v_mul_f32_e64 v10, s9, -v9
	v_mul_f32_e32 v11, 0x3fb8aa3b, v10
	v_fma_f32 v12, v10, s5, -v11
	v_rndne_f32_e32 v13, v11
	v_fmac_f32_e32 v12, 0x32a5705f, v10
	v_sub_f32_e32 v11, v11, v13
	v_add_f32_e32 v11, v11, v12
	v_cvt_i32_f32_e32 v13, v13
	v_exp_f32_e32 v11, v11
	v_cmp_ngt_f32_e32 vcc, s7, v10
	v_ldexp_f32 v11, v11, v13
	v_cndmask_b32_e32 v11, 0, v11, vcc
	v_cmp_nlt_f32_e32 vcc, s8, v10
	v_cndmask_b32_e32 v10, v7, v11, vcc
	v_add_f32_e32 v10, 1.0, v10
	v_div_scale_f32 v11, s[0:1], v10, v10, 1.0
	v_div_scale_f32 v12, vcc, 1.0, v10, 1.0
	v_add_co_u32_e64 v4, s[0:1], s4, v4
	v_addc_co_u32_e64 v5, s[0:1], 0, v5, s[0:1]
	v_cmp_lt_f32_e64 s[0:1], v8, -s10
	v_rcp_f32_e32 v13, v11
	v_fma_f32 v14, -v11, v13, 1.0
	v_fmac_f32_e32 v13, v14, v13
	v_mul_f32_e32 v14, v12, v13
	v_fma_f32 v15, -v11, v14, v12
	v_fmac_f32_e32 v14, v15, v13
	v_fma_f32 v11, -v11, v14, v12
	v_div_fmas_f32 v11, v11, v13, v14
	v_cmp_le_i64_e32 vcc, s[16:17], v[0:1]
	v_cndmask_b32_e64 v12, v8, -v6, s[0:1]
	s_or_b64 s[2:3], vcc, s[2:3]
	v_cmp_lt_f32_e32 vcc, s10, v8
	v_cndmask_b32_e32 v8, v12, v6, vcc
	v_add_f32_e32 v8, 1.0, v8
	v_div_fixup_f32 v10, v11, v10, 1.0
	v_mul_f32_e32 v9, v9, v10
	v_fma_mixlo_f16 v8, v8, v9, 0
	global_store_short v[2:3], v8, off
	v_add_co_u32_e32 v2, vcc, s6, v2
	v_addc_co_u32_e32 v3, vcc, 0, v3, vcc
	s_andn2_b64 exec, exec, s[2:3]
	s_cbranch_execnz .LBB16_7
.LBB16_8:
	s_endpgm
	.section	.rodata,"a",@progbits
	.p2align	6, 0x0
	.amdhsa_kernel _ZN4vllm24swigluoai_and_mul_kernelIN3c104HalfETnPFT_RKS3_S5_ffEXadL_ZNS_17swigluoai_and_mulIS2_EES3_S5_S5_ffEEEEvPS3_PS4_iff
		.amdhsa_group_segment_fixed_size 0
		.amdhsa_private_segment_fixed_size 0
		.amdhsa_kernarg_size 288
		.amdhsa_user_sgpr_count 6
		.amdhsa_user_sgpr_private_segment_buffer 1
		.amdhsa_user_sgpr_dispatch_ptr 0
		.amdhsa_user_sgpr_queue_ptr 0
		.amdhsa_user_sgpr_kernarg_segment_ptr 1
		.amdhsa_user_sgpr_dispatch_id 0
		.amdhsa_user_sgpr_flat_scratch_init 0
		.amdhsa_user_sgpr_private_segment_size 0
		.amdhsa_uses_dynamic_stack 0
		.amdhsa_system_sgpr_private_segment_wavefront_offset 0
		.amdhsa_system_sgpr_workgroup_id_x 1
		.amdhsa_system_sgpr_workgroup_id_y 0
		.amdhsa_system_sgpr_workgroup_id_z 0
		.amdhsa_system_sgpr_workgroup_info 0
		.amdhsa_system_vgpr_workitem_id 0
		.amdhsa_next_free_vgpr 31
		.amdhsa_next_free_sgpr 29
		.amdhsa_reserve_vcc 1
		.amdhsa_reserve_flat_scratch 0
		.amdhsa_float_round_mode_32 0
		.amdhsa_float_round_mode_16_64 0
		.amdhsa_float_denorm_mode_32 3
		.amdhsa_float_denorm_mode_16_64 3
		.amdhsa_dx10_clamp 1
		.amdhsa_ieee_mode 1
		.amdhsa_fp16_overflow 0
		.amdhsa_exception_fp_ieee_invalid_op 0
		.amdhsa_exception_fp_denorm_src 0
		.amdhsa_exception_fp_ieee_div_zero 0
		.amdhsa_exception_fp_ieee_overflow 0
		.amdhsa_exception_fp_ieee_underflow 0
		.amdhsa_exception_fp_ieee_inexact 0
		.amdhsa_exception_int_div_zero 0
	.end_amdhsa_kernel
	.section	.text._ZN4vllm24swigluoai_and_mul_kernelIN3c104HalfETnPFT_RKS3_S5_ffEXadL_ZNS_17swigluoai_and_mulIS2_EES3_S5_S5_ffEEEEvPS3_PS4_iff,"axG",@progbits,_ZN4vllm24swigluoai_and_mul_kernelIN3c104HalfETnPFT_RKS3_S5_ffEXadL_ZNS_17swigluoai_and_mulIS2_EES3_S5_S5_ffEEEEvPS3_PS4_iff,comdat
.Lfunc_end16:
	.size	_ZN4vllm24swigluoai_and_mul_kernelIN3c104HalfETnPFT_RKS3_S5_ffEXadL_ZNS_17swigluoai_and_mulIS2_EES3_S5_S5_ffEEEEvPS3_PS4_iff, .Lfunc_end16-_ZN4vllm24swigluoai_and_mul_kernelIN3c104HalfETnPFT_RKS3_S5_ffEXadL_ZNS_17swigluoai_and_mulIS2_EES3_S5_S5_ffEEEEvPS3_PS4_iff
                                        ; -- End function
	.set _ZN4vllm24swigluoai_and_mul_kernelIN3c104HalfETnPFT_RKS3_S5_ffEXadL_ZNS_17swigluoai_and_mulIS2_EES3_S5_S5_ffEEEEvPS3_PS4_iff.num_vgpr, 31
	.set _ZN4vllm24swigluoai_and_mul_kernelIN3c104HalfETnPFT_RKS3_S5_ffEXadL_ZNS_17swigluoai_and_mulIS2_EES3_S5_S5_ffEEEEvPS3_PS4_iff.num_agpr, 0
	.set _ZN4vllm24swigluoai_and_mul_kernelIN3c104HalfETnPFT_RKS3_S5_ffEXadL_ZNS_17swigluoai_and_mulIS2_EES3_S5_S5_ffEEEEvPS3_PS4_iff.numbered_sgpr, 29
	.set _ZN4vllm24swigluoai_and_mul_kernelIN3c104HalfETnPFT_RKS3_S5_ffEXadL_ZNS_17swigluoai_and_mulIS2_EES3_S5_S5_ffEEEEvPS3_PS4_iff.num_named_barrier, 0
	.set _ZN4vllm24swigluoai_and_mul_kernelIN3c104HalfETnPFT_RKS3_S5_ffEXadL_ZNS_17swigluoai_and_mulIS2_EES3_S5_S5_ffEEEEvPS3_PS4_iff.private_seg_size, 0
	.set _ZN4vllm24swigluoai_and_mul_kernelIN3c104HalfETnPFT_RKS3_S5_ffEXadL_ZNS_17swigluoai_and_mulIS2_EES3_S5_S5_ffEEEEvPS3_PS4_iff.uses_vcc, 1
	.set _ZN4vllm24swigluoai_and_mul_kernelIN3c104HalfETnPFT_RKS3_S5_ffEXadL_ZNS_17swigluoai_and_mulIS2_EES3_S5_S5_ffEEEEvPS3_PS4_iff.uses_flat_scratch, 0
	.set _ZN4vllm24swigluoai_and_mul_kernelIN3c104HalfETnPFT_RKS3_S5_ffEXadL_ZNS_17swigluoai_and_mulIS2_EES3_S5_S5_ffEEEEvPS3_PS4_iff.has_dyn_sized_stack, 0
	.set _ZN4vllm24swigluoai_and_mul_kernelIN3c104HalfETnPFT_RKS3_S5_ffEXadL_ZNS_17swigluoai_and_mulIS2_EES3_S5_S5_ffEEEEvPS3_PS4_iff.has_recursion, 0
	.set _ZN4vllm24swigluoai_and_mul_kernelIN3c104HalfETnPFT_RKS3_S5_ffEXadL_ZNS_17swigluoai_and_mulIS2_EES3_S5_S5_ffEEEEvPS3_PS4_iff.has_indirect_call, 0
	.section	.AMDGPU.csdata,"",@progbits
; Kernel info:
; codeLenInByte = 1316
; TotalNumSgprs: 33
; NumVgprs: 31
; ScratchSize: 0
; MemoryBound: 0
; FloatMode: 240
; IeeeMode: 1
; LDSByteSize: 0 bytes/workgroup (compile time only)
; SGPRBlocks: 4
; VGPRBlocks: 7
; NumSGPRsForWavesPerEU: 33
; NumVGPRsForWavesPerEU: 31
; Occupancy: 8
; WaveLimiterHint : 0
; COMPUTE_PGM_RSRC2:SCRATCH_EN: 0
; COMPUTE_PGM_RSRC2:USER_SGPR: 6
; COMPUTE_PGM_RSRC2:TRAP_HANDLER: 0
; COMPUTE_PGM_RSRC2:TGID_X_EN: 1
; COMPUTE_PGM_RSRC2:TGID_Y_EN: 0
; COMPUTE_PGM_RSRC2:TGID_Z_EN: 0
; COMPUTE_PGM_RSRC2:TIDIG_COMP_CNT: 0
	.section	.text._ZN4vllm24swigluoai_and_mul_kernelIN3c108BFloat16ETnPFT_RKS3_S5_ffEXadL_ZNS_17swigluoai_and_mulIS2_EES3_S5_S5_ffEEEEvPS3_PS4_iff,"axG",@progbits,_ZN4vllm24swigluoai_and_mul_kernelIN3c108BFloat16ETnPFT_RKS3_S5_ffEXadL_ZNS_17swigluoai_and_mulIS2_EES3_S5_S5_ffEEEEvPS3_PS4_iff,comdat
	.protected	_ZN4vllm24swigluoai_and_mul_kernelIN3c108BFloat16ETnPFT_RKS3_S5_ffEXadL_ZNS_17swigluoai_and_mulIS2_EES3_S5_S5_ffEEEEvPS3_PS4_iff ; -- Begin function _ZN4vllm24swigluoai_and_mul_kernelIN3c108BFloat16ETnPFT_RKS3_S5_ffEXadL_ZNS_17swigluoai_and_mulIS2_EES3_S5_S5_ffEEEEvPS3_PS4_iff
	.globl	_ZN4vllm24swigluoai_and_mul_kernelIN3c108BFloat16ETnPFT_RKS3_S5_ffEXadL_ZNS_17swigluoai_and_mulIS2_EES3_S5_S5_ffEEEEvPS3_PS4_iff
	.p2align	8
	.type	_ZN4vllm24swigluoai_and_mul_kernelIN3c108BFloat16ETnPFT_RKS3_S5_ffEXadL_ZNS_17swigluoai_and_mulIS2_EES3_S5_S5_ffEEEEvPS3_PS4_iff,@function
_ZN4vllm24swigluoai_and_mul_kernelIN3c108BFloat16ETnPFT_RKS3_S5_ffEXadL_ZNS_17swigluoai_and_mulIS2_EES3_S5_S5_ffEEEEvPS3_PS4_iff: ; @_ZN4vllm24swigluoai_and_mul_kernelIN3c108BFloat16ETnPFT_RKS3_S5_ffEXadL_ZNS_17swigluoai_and_mulIS2_EES3_S5_S5_ffEEEEvPS3_PS4_iff
; %bb.0:
	s_load_dwordx4 s[8:11], s[4:5], 0x10
	s_waitcnt lgkmcnt(0)
	v_cmp_gt_i32_e32 vcc, s8, v0
	s_and_saveexec_b64 s[0:1], vcc
	s_cbranch_execz .LBB17_10
; %bb.1:
	v_mov_b32_e32 v1, 0
	s_ashr_i32 s17, s8, 31
	s_mov_b32 s16, s8
	v_add_u32_e32 v2, 1, v0
	v_mov_b32_e32 v3, v1
	s_load_dwordx4 s[12:15], s[4:5], 0x0
	s_load_dword s0, s[4:5], 0x2c
	v_cmp_lt_i64_e32 vcc, s[16:17], v[2:3]
	v_mov_b32_e32 v4, s17
	v_cndmask_b32_e64 v3, v4, 0, vcc
	v_mov_b32_e32 v4, s8
	v_cndmask_b32_e32 v2, v4, v2, vcc
	s_mul_hi_u32 s1, s6, s8
	s_mul_i32 s2, s6, s17
	v_sub_co_u32_e32 v5, vcc, v2, v0
	s_add_i32 s7, s1, s2
	s_waitcnt lgkmcnt(0)
	s_and_b32 s26, s0, 0xffff
	v_subbrev_co_u32_e32 v6, vcc, 0, v3, vcc
	v_cmp_gt_u64_e32 vcc, 2, v[5:6]
	s_cmp_lg_u32 s26, 1
	s_cselect_b64 s[0:1], -1, 0
	s_mul_i32 s6, s6, s8
	s_or_b64 s[0:1], vcc, s[0:1]
	s_mov_b64 s[18:19], 0
	v_mov_b32_e32 v8, v6
	s_and_saveexec_b64 s[2:3], s[0:1]
	s_xor_b64 s[0:1], exec, s[2:3]
; %bb.2:
	s_mov_b64 s[18:19], exec
                                        ; implicit-def: $vgpr5_vgpr6
                                        ; implicit-def: $vgpr8
; %bb.3:
	s_or_saveexec_b64 s[22:23], s[0:1]
	s_lshl_b64 s[20:21], s[6:7], 2
	v_mov_b32_e32 v2, s10
	v_mov_b32_e32 v3, s11
	s_xor_b64 exec, exec, s[22:23]
	s_cbranch_execz .LBB17_7
; %bb.4:
	s_add_u32 s8, s14, s20
	s_addc_u32 s2, s15, s21
	s_lshl_b64 s[0:1], s[6:7], 1
	s_add_u32 s0, s12, s0
	v_lshlrev_b64 v[9:10], 1, v[0:1]
	s_addc_u32 s1, s13, s1
	v_add_u32_e32 v2, 1, v0
	v_mov_b32_e32 v3, 0
	v_mov_b32_e32 v4, s1
	v_add_co_u32_e32 v9, vcc, s0, v9
	v_and_b32_e32 v7, -2, v5
	s_xor_b32 s11, s10, 0x80000000
	v_addc_co_u32_e32 v10, vcc, v4, v10, vcc
	v_mov_b32_e32 v12, v8
	v_mov_b32_e32 v4, v3
	s_mov_b32 s27, s11
	s_mov_b32 s28, s10
	;; [unrolled: 1-line block ×3, first 2 shown]
	s_mov_b64 s[24:25], 0
	v_mov_b32_e32 v13, s2
	v_mov_b32_e32 v14, s11
	v_mov_b32_e32 v15, s11
	v_mov_b32_e32 v16, s10
	v_mov_b32_e32 v17, s10
	s_mov_b32 s30, 0x3fb8aa3b
	s_mov_b32 s31, 0xc2ce8ed0
	;; [unrolled: 1-line block ×3, first 2 shown]
	v_mov_b32_e32 v18, 0x7f800000
	s_movk_i32 s34, 0x7fff
	v_mov_b32_e32 v19, 0x7fc0
	s_mov_b32 s35, 0x5040100
	v_mov_b32_e32 v20, 1
	v_mov_b32_e32 v11, v7
	;; [unrolled: 1-line block ×5, first 2 shown]
.LBB17_5:                               ; =>This Inner Loop Header: Depth=1
	v_lshlrev_b64 v[23:24], 2, v[1:2]
	v_lshlrev_b64 v[21:22], 2, v[3:4]
	v_add_co_u32_e32 v23, vcc, s8, v23
	v_addc_co_u32_e32 v24, vcc, v13, v24, vcc
	v_add_co_u32_e32 v21, vcc, s8, v21
	v_addc_co_u32_e32 v22, vcc, v13, v22, vcc
	global_load_dword v25, v[23:24], off
	global_load_dword v26, v[21:22], off
	s_waitcnt vmcnt(1)
	v_and_b32_e32 v21, 0xffff0000, v25
	v_cmp_gt_f32_e64 s[2:3], s11, v21
	v_lshlrev_b32_e32 v23, 16, v25
	v_cmp_lt_f32_e64 s[0:1], s10, v21
	v_cndmask_b32_e64 v21, v21, v15, s[2:3]
	v_cndmask_b32_e64 v21, v21, v16, s[0:1]
	v_cmp_lt_f32_e64 s[0:1], s10, v23
	v_cndmask_b32_e64 v23, v23, v16, s[0:1]
	s_waitcnt vmcnt(0)
	v_lshlrev_b32_e32 v24, 16, v26
	v_and_b32_e32 v22, 0xffff0000, v26
	v_mul_f32_e64 v26, s29, -v23
	v_mul_f32_e32 v27, 0x3fb8aa3b, v26
	v_fma_f32 v28, v26, s30, -v27
	v_rndne_f32_e32 v29, v27
	v_fmac_f32_e32 v28, 0x32a5705f, v26
	v_sub_f32_e32 v27, v27, v29
	v_add_f32_e32 v27, v27, v28
	v_exp_f32_e32 v27, v27
	v_cvt_i32_f32_e32 v28, v29
	v_cmp_gt_f32_e64 s[4:5], s27, v22
	v_cmp_lt_f32_e32 vcc, s28, v22
	v_cndmask_b32_e64 v22, v22, v14, s[4:5]
	v_cndmask_b32_e32 v22, v22, v17, vcc
	v_cmp_lt_f32_e32 vcc, s28, v24
	v_cndmask_b32_e32 v24, v24, v17, vcc
	v_ldexp_f32 v27, v27, v28
	v_cmp_ngt_f32_e32 vcc, s31, v26
	v_mul_f32_e64 v25, s9, -v24
	v_cndmask_b32_e32 v27, 0, v27, vcc
	v_cmp_nlt_f32_e32 vcc, s33, v26
	v_cndmask_b32_e32 v26, v18, v27, vcc
	v_mul_f32_e32 v27, 0x3fb8aa3b, v25
	v_fma_f32 v28, v25, s30, -v27
	v_rndne_f32_e32 v29, v27
	v_fmac_f32_e32 v28, 0x32a5705f, v25
	v_sub_f32_e32 v27, v27, v29
	v_add_f32_e32 v27, v27, v28
	v_exp_f32_e32 v27, v27
	v_cvt_i32_f32_e32 v28, v29
	v_cmp_ngt_f32_e32 vcc, s31, v25
	v_add_f32_e32 v26, 1.0, v26
	v_add_f32_e32 v21, 1.0, v21
	v_ldexp_f32 v27, v27, v28
	v_cndmask_b32_e32 v27, 0, v27, vcc
	v_cmp_nlt_f32_e32 vcc, s33, v25
	v_cndmask_b32_e32 v25, v18, v27, vcc
	v_div_scale_f32 v27, s[0:1], v26, v26, 1.0
	v_add_f32_e32 v25, 1.0, v25
	v_add_f32_e32 v22, 1.0, v22
	v_rcp_f32_e32 v28, v27
	v_fma_f32 v29, -v27, v28, 1.0
	v_fmac_f32_e32 v28, v29, v28
	v_div_scale_f32 v29, vcc, 1.0, v26, 1.0
	v_mul_f32_e32 v30, v29, v28
	v_fma_f32 v31, -v27, v30, v29
	v_fmac_f32_e32 v30, v31, v28
	v_fma_f32 v27, -v27, v30, v29
	v_div_fmas_f32 v27, v27, v28, v30
	v_div_fixup_f32 v26, v27, v26, 1.0
	v_div_scale_f32 v27, s[0:1], v25, v25, 1.0
	v_mul_f32_e32 v23, v23, v26
	v_mul_f32_e32 v21, v21, v23
	v_rcp_f32_e32 v28, v27
	v_fma_f32 v29, -v27, v28, 1.0
	v_fmac_f32_e32 v28, v29, v28
	v_div_scale_f32 v29, vcc, 1.0, v25, 1.0
	v_mul_f32_e32 v30, v29, v28
	v_fma_f32 v31, -v27, v30, v29
	v_fmac_f32_e32 v30, v31, v28
	v_fma_f32 v27, -v27, v30, v29
	v_div_fmas_f32 v27, v27, v28, v30
	v_cmp_o_f32_e32 vcc, v21, v21
	v_div_fixup_f32 v25, v27, v25, 1.0
	v_mul_f32_e32 v24, v24, v25
	v_mul_f32_e32 v22, v22, v24
	v_and_b32_sdwa v24, v21, v20 dst_sel:DWORD dst_unused:UNUSED_PAD src0_sel:WORD_1 src1_sel:DWORD
	v_and_b32_sdwa v23, v22, v20 dst_sel:DWORD dst_unused:UNUSED_PAD src0_sel:WORD_1 src1_sel:DWORD
	v_add3_u32 v24, v21, v24, s34
	v_add3_u32 v23, v22, v23, s34
	v_lshrrev_b32_e32 v24, 16, v24
	v_lshrrev_b32_e32 v23, 16, v23
	v_cndmask_b32_e32 v21, v19, v24, vcc
	v_cmp_o_f32_e32 vcc, v22, v22
	v_cndmask_b32_e32 v22, v19, v23, vcc
	v_add_co_u32_e32 v3, vcc, 2, v3
	v_addc_co_u32_e32 v4, vcc, 0, v4, vcc
	v_add_co_u32_e32 v1, vcc, 2, v1
	v_perm_b32 v21, v22, v21, s35
	v_addc_co_u32_e32 v2, vcc, 0, v2, vcc
	global_store_dword v[9:10], v21, off
	v_add_co_u32_e32 v9, vcc, 4, v9
	v_addc_co_u32_e32 v10, vcc, 0, v10, vcc
	v_add_co_u32_e32 v11, vcc, -2, v11
	v_addc_co_u32_e32 v12, vcc, -1, v12, vcc
	v_cmp_eq_u64_e32 vcc, 0, v[11:12]
	s_or_b64 s[24:25], vcc, s[24:25]
	s_andn2_b64 exec, exec, s[24:25]
	s_cbranch_execnz .LBB17_5
; %bb.6:
	s_or_b64 exec, exec, s[24:25]
	v_add_co_u32_e32 v0, vcc, v7, v0
	v_addc_co_u32_e32 v1, vcc, 0, v8, vcc
	v_cmp_ne_u64_e32 vcc, v[5:6], v[7:8]
	s_andn2_b64 s[0:1], s[18:19], exec
	s_and_b64 s[2:3], vcc, exec
	v_mov_b32_e32 v2, s10
	s_or_b64 s[18:19], s[0:1], s[2:3]
	v_mov_b32_e32 v3, s11
.LBB17_7:
	s_or_b64 exec, exec, s[22:23]
	s_and_b64 exec, exec, s[18:19]
	s_cbranch_execz .LBB17_10
; %bb.8:
	s_lshl_b64 s[0:1], s[6:7], 1
	v_lshlrev_b64 v[3:4], 1, v[0:1]
	s_add_u32 s0, s12, s0
	s_addc_u32 s1, s13, s1
	v_mov_b32_e32 v5, s1
	v_add_co_u32_e32 v3, vcc, s0, v3
	s_lshl_b32 s6, s26, 1
	v_addc_co_u32_e32 v4, vcc, v5, v4, vcc
	v_lshlrev_b64 v[5:6], 2, v[0:1]
	s_add_u32 s0, s14, s20
	s_addc_u32 s1, s15, s21
	v_mov_b32_e32 v8, s1
	v_add_co_u32_e32 v5, vcc, s0, v5
	v_mov_b32_e32 v7, s10
	v_addc_co_u32_e32 v6, vcc, v8, v6, vcc
	s_lshl_b32 s7, s26, 2
	s_mov_b64 s[4:5], 0
	s_mov_b32 s8, 0x3fb8aa3b
	s_mov_b32 s11, 0xc2ce8ed0
	s_mov_b32 s12, 0x42b17218
	v_mov_b32_e32 v8, 0x7f800000
	s_movk_i32 s13, 0x7fff
	v_mov_b32_e32 v9, 0x7fc0
.LBB17_9:                               ; =>This Inner Loop Header: Depth=1
	global_load_dword v10, v[5:6], off
	v_add_co_u32_e32 v0, vcc, s26, v0
	v_addc_co_u32_e32 v1, vcc, 0, v1, vcc
	v_add_co_u32_e64 v5, s[2:3], s7, v5
	s_waitcnt vmcnt(0)
	v_lshlrev_b32_e32 v11, 16, v10
	v_cmp_lt_f32_e64 s[0:1], v2, v11
	v_cndmask_b32_e64 v11, v11, v7, s[0:1]
	v_mul_f32_e64 v12, s9, -v11
	v_mul_f32_e32 v13, 0x3fb8aa3b, v12
	v_fma_f32 v14, v12, s8, -v13
	v_rndne_f32_e32 v15, v13
	v_fmac_f32_e32 v14, 0x32a5705f, v12
	v_sub_f32_e32 v13, v13, v15
	v_add_f32_e32 v13, v13, v14
	v_cvt_i32_f32_e32 v15, v15
	v_exp_f32_e32 v13, v13
	v_cmp_ngt_f32_e64 s[0:1], s11, v12
	v_and_b32_e32 v10, 0xffff0000, v10
	v_ldexp_f32 v13, v13, v15
	v_cndmask_b32_e64 v13, 0, v13, s[0:1]
	v_cmp_nlt_f32_e64 s[0:1], s12, v12
	v_cndmask_b32_e64 v12, v8, v13, s[0:1]
	v_add_f32_e32 v12, 1.0, v12
	v_div_scale_f32 v13, s[0:1], v12, v12, 1.0
	v_div_scale_f32 v14, s[0:1], 1.0, v12, 1.0
	s_mov_b64 vcc, s[0:1]
	v_cmp_lt_f32_e64 s[0:1], v10, -s10
	v_rcp_f32_e32 v15, v13
	v_fma_f32 v16, -v13, v15, 1.0
	v_fmac_f32_e32 v15, v16, v15
	v_mul_f32_e32 v16, v14, v15
	v_fma_f32 v17, -v13, v16, v14
	v_fmac_f32_e32 v16, v17, v15
	v_fma_f32 v13, -v13, v16, v14
	v_div_fmas_f32 v13, v13, v15, v16
	v_addc_co_u32_e64 v6, vcc, 0, v6, s[2:3]
	v_cmp_le_i64_e32 vcc, s[16:17], v[0:1]
	v_cndmask_b32_e64 v14, v10, -v7, s[0:1]
	s_or_b64 s[4:5], vcc, s[4:5]
	v_cmp_lt_f32_e32 vcc, v7, v10
	v_cndmask_b32_e32 v10, v14, v7, vcc
	v_add_f32_e32 v10, 1.0, v10
	v_div_fixup_f32 v12, v13, v12, 1.0
	v_mul_f32_e32 v11, v11, v12
	v_mul_f32_e32 v10, v10, v11
	v_bfe_u32 v11, v10, 16, 1
	v_add3_u32 v11, v10, v11, s13
	v_lshrrev_b32_e32 v11, 16, v11
	v_cmp_o_f32_e32 vcc, v10, v10
	v_cndmask_b32_e32 v10, v9, v11, vcc
	global_store_short v[3:4], v10, off
	v_add_co_u32_e32 v3, vcc, s6, v3
	v_addc_co_u32_e32 v4, vcc, 0, v4, vcc
	s_andn2_b64 exec, exec, s[4:5]
	s_cbranch_execnz .LBB17_9
.LBB17_10:
	s_endpgm
	.section	.rodata,"a",@progbits
	.p2align	6, 0x0
	.amdhsa_kernel _ZN4vllm24swigluoai_and_mul_kernelIN3c108BFloat16ETnPFT_RKS3_S5_ffEXadL_ZNS_17swigluoai_and_mulIS2_EES3_S5_S5_ffEEEEvPS3_PS4_iff
		.amdhsa_group_segment_fixed_size 0
		.amdhsa_private_segment_fixed_size 0
		.amdhsa_kernarg_size 288
		.amdhsa_user_sgpr_count 6
		.amdhsa_user_sgpr_private_segment_buffer 1
		.amdhsa_user_sgpr_dispatch_ptr 0
		.amdhsa_user_sgpr_queue_ptr 0
		.amdhsa_user_sgpr_kernarg_segment_ptr 1
		.amdhsa_user_sgpr_dispatch_id 0
		.amdhsa_user_sgpr_flat_scratch_init 0
		.amdhsa_user_sgpr_private_segment_size 0
		.amdhsa_uses_dynamic_stack 0
		.amdhsa_system_sgpr_private_segment_wavefront_offset 0
		.amdhsa_system_sgpr_workgroup_id_x 1
		.amdhsa_system_sgpr_workgroup_id_y 0
		.amdhsa_system_sgpr_workgroup_id_z 0
		.amdhsa_system_sgpr_workgroup_info 0
		.amdhsa_system_vgpr_workitem_id 0
		.amdhsa_next_free_vgpr 32
		.amdhsa_next_free_sgpr 36
		.amdhsa_reserve_vcc 1
		.amdhsa_reserve_flat_scratch 0
		.amdhsa_float_round_mode_32 0
		.amdhsa_float_round_mode_16_64 0
		.amdhsa_float_denorm_mode_32 3
		.amdhsa_float_denorm_mode_16_64 3
		.amdhsa_dx10_clamp 1
		.amdhsa_ieee_mode 1
		.amdhsa_fp16_overflow 0
		.amdhsa_exception_fp_ieee_invalid_op 0
		.amdhsa_exception_fp_denorm_src 0
		.amdhsa_exception_fp_ieee_div_zero 0
		.amdhsa_exception_fp_ieee_overflow 0
		.amdhsa_exception_fp_ieee_underflow 0
		.amdhsa_exception_fp_ieee_inexact 0
		.amdhsa_exception_int_div_zero 0
	.end_amdhsa_kernel
	.section	.text._ZN4vllm24swigluoai_and_mul_kernelIN3c108BFloat16ETnPFT_RKS3_S5_ffEXadL_ZNS_17swigluoai_and_mulIS2_EES3_S5_S5_ffEEEEvPS3_PS4_iff,"axG",@progbits,_ZN4vllm24swigluoai_and_mul_kernelIN3c108BFloat16ETnPFT_RKS3_S5_ffEXadL_ZNS_17swigluoai_and_mulIS2_EES3_S5_S5_ffEEEEvPS3_PS4_iff,comdat
.Lfunc_end17:
	.size	_ZN4vllm24swigluoai_and_mul_kernelIN3c108BFloat16ETnPFT_RKS3_S5_ffEXadL_ZNS_17swigluoai_and_mulIS2_EES3_S5_S5_ffEEEEvPS3_PS4_iff, .Lfunc_end17-_ZN4vllm24swigluoai_and_mul_kernelIN3c108BFloat16ETnPFT_RKS3_S5_ffEXadL_ZNS_17swigluoai_and_mulIS2_EES3_S5_S5_ffEEEEvPS3_PS4_iff
                                        ; -- End function
	.set _ZN4vllm24swigluoai_and_mul_kernelIN3c108BFloat16ETnPFT_RKS3_S5_ffEXadL_ZNS_17swigluoai_and_mulIS2_EES3_S5_S5_ffEEEEvPS3_PS4_iff.num_vgpr, 32
	.set _ZN4vllm24swigluoai_and_mul_kernelIN3c108BFloat16ETnPFT_RKS3_S5_ffEXadL_ZNS_17swigluoai_and_mulIS2_EES3_S5_S5_ffEEEEvPS3_PS4_iff.num_agpr, 0
	.set _ZN4vllm24swigluoai_and_mul_kernelIN3c108BFloat16ETnPFT_RKS3_S5_ffEXadL_ZNS_17swigluoai_and_mulIS2_EES3_S5_S5_ffEEEEvPS3_PS4_iff.numbered_sgpr, 36
	.set _ZN4vllm24swigluoai_and_mul_kernelIN3c108BFloat16ETnPFT_RKS3_S5_ffEXadL_ZNS_17swigluoai_and_mulIS2_EES3_S5_S5_ffEEEEvPS3_PS4_iff.num_named_barrier, 0
	.set _ZN4vllm24swigluoai_and_mul_kernelIN3c108BFloat16ETnPFT_RKS3_S5_ffEXadL_ZNS_17swigluoai_and_mulIS2_EES3_S5_S5_ffEEEEvPS3_PS4_iff.private_seg_size, 0
	.set _ZN4vllm24swigluoai_and_mul_kernelIN3c108BFloat16ETnPFT_RKS3_S5_ffEXadL_ZNS_17swigluoai_and_mulIS2_EES3_S5_S5_ffEEEEvPS3_PS4_iff.uses_vcc, 1
	.set _ZN4vllm24swigluoai_and_mul_kernelIN3c108BFloat16ETnPFT_RKS3_S5_ffEXadL_ZNS_17swigluoai_and_mulIS2_EES3_S5_S5_ffEEEEvPS3_PS4_iff.uses_flat_scratch, 0
	.set _ZN4vllm24swigluoai_and_mul_kernelIN3c108BFloat16ETnPFT_RKS3_S5_ffEXadL_ZNS_17swigluoai_and_mulIS2_EES3_S5_S5_ffEEEEvPS3_PS4_iff.has_dyn_sized_stack, 0
	.set _ZN4vllm24swigluoai_and_mul_kernelIN3c108BFloat16ETnPFT_RKS3_S5_ffEXadL_ZNS_17swigluoai_and_mulIS2_EES3_S5_S5_ffEEEEvPS3_PS4_iff.has_recursion, 0
	.set _ZN4vllm24swigluoai_and_mul_kernelIN3c108BFloat16ETnPFT_RKS3_S5_ffEXadL_ZNS_17swigluoai_and_mulIS2_EES3_S5_S5_ffEEEEvPS3_PS4_iff.has_indirect_call, 0
	.section	.AMDGPU.csdata,"",@progbits
; Kernel info:
; codeLenInByte = 1468
; TotalNumSgprs: 40
; NumVgprs: 32
; ScratchSize: 0
; MemoryBound: 0
; FloatMode: 240
; IeeeMode: 1
; LDSByteSize: 0 bytes/workgroup (compile time only)
; SGPRBlocks: 4
; VGPRBlocks: 7
; NumSGPRsForWavesPerEU: 40
; NumVGPRsForWavesPerEU: 32
; Occupancy: 8
; WaveLimiterHint : 0
; COMPUTE_PGM_RSRC2:SCRATCH_EN: 0
; COMPUTE_PGM_RSRC2:USER_SGPR: 6
; COMPUTE_PGM_RSRC2:TRAP_HANDLER: 0
; COMPUTE_PGM_RSRC2:TGID_X_EN: 1
; COMPUTE_PGM_RSRC2:TGID_Y_EN: 0
; COMPUTE_PGM_RSRC2:TGID_Z_EN: 0
; COMPUTE_PGM_RSRC2:TIDIG_COMP_CNT: 0
	.section	.text._ZN4vllm17activation_kernelIfTnPFT_RKS1_EXadL_ZNS_15gelu_new_kernelIfEES1_S3_EEEEvPS1_PS2_i,"axG",@progbits,_ZN4vllm17activation_kernelIfTnPFT_RKS1_EXadL_ZNS_15gelu_new_kernelIfEES1_S3_EEEEvPS1_PS2_i,comdat
	.protected	_ZN4vllm17activation_kernelIfTnPFT_RKS1_EXadL_ZNS_15gelu_new_kernelIfEES1_S3_EEEEvPS1_PS2_i ; -- Begin function _ZN4vllm17activation_kernelIfTnPFT_RKS1_EXadL_ZNS_15gelu_new_kernelIfEES1_S3_EEEEvPS1_PS2_i
	.globl	_ZN4vllm17activation_kernelIfTnPFT_RKS1_EXadL_ZNS_15gelu_new_kernelIfEES1_S3_EEEEvPS1_PS2_i
	.p2align	8
	.type	_ZN4vllm17activation_kernelIfTnPFT_RKS1_EXadL_ZNS_15gelu_new_kernelIfEES1_S3_EEEEvPS1_PS2_i,@function
_ZN4vllm17activation_kernelIfTnPFT_RKS1_EXadL_ZNS_15gelu_new_kernelIfEES1_S3_EEEEvPS1_PS2_i: ; @_ZN4vllm17activation_kernelIfTnPFT_RKS1_EXadL_ZNS_15gelu_new_kernelIfEES1_S3_EEEEvPS1_PS2_i
; %bb.0:
	s_load_dword s8, s[4:5], 0x10
	s_waitcnt lgkmcnt(0)
	v_cmp_gt_i32_e32 vcc, s8, v0
	s_and_saveexec_b64 s[0:1], vcc
	s_cbranch_execz .LBB18_7
; %bb.1:
	v_mov_b32_e32 v1, 0
	v_mov_b32_e32 v2, s6
	s_load_dwordx4 s[0:3], s[4:5], 0x0
	s_load_dword s7, s[4:5], 0x24
	v_mad_u64_u32 v[2:3], s[4:5], s8, v2, v[0:1]
	s_ashr_i32 s9, s8, 31
	s_mul_i32 s4, s9, s6
	v_add_u32_e32 v3, s4, v3
	s_waitcnt lgkmcnt(0)
	s_and_b32 s10, s7, 0xffff
	v_lshlrev_b64 v[2:3], 2, v[2:3]
	s_lshl_b32 s11, s10, 2
	s_mov_b64 s[4:5], 0
	v_mov_b32_e32 v4, s3
	s_mov_b32 s3, 0x3f200000
	s_mov_b32 s12, 0x3fb8aa3b
	;; [unrolled: 1-line block ×4, first 2 shown]
	v_mov_b32_e32 v5, 0xbd5c1c4e
	v_mov_b32_e32 v6, 0x3e088382
	;; [unrolled: 1-line block ×3, first 2 shown]
	s_brev_b32 s15, -2
	v_mov_b32_e32 v8, s1
	v_mov_b32_e32 v9, 0x7f800000
	s_branch .LBB18_3
.LBB18_2:                               ;   in Loop: Header=BB18_3 Depth=1
	s_or_b64 exec, exec, s[6:7]
	v_bfi_b32 v11, s15, v12, v11
	v_mul_f32_e32 v10, 0.5, v10
	v_add_f32_e32 v11, 1.0, v11
	v_mul_f32_e32 v12, v10, v11
	v_add_co_u32_e32 v10, vcc, s0, v2
	v_addc_co_u32_e32 v11, vcc, v8, v3, vcc
	v_add_co_u32_e32 v0, vcc, s10, v0
	v_addc_co_u32_e32 v1, vcc, 0, v1, vcc
	v_cmp_le_i64_e32 vcc, s[8:9], v[0:1]
	global_store_dword v[10:11], v12, off
	s_or_b64 s[4:5], vcc, s[4:5]
	v_add_co_u32_e32 v2, vcc, s11, v2
	v_addc_co_u32_e32 v3, vcc, 0, v3, vcc
	s_andn2_b64 exec, exec, s[4:5]
	s_cbranch_execz .LBB18_7
.LBB18_3:                               ; =>This Inner Loop Header: Depth=1
	v_add_co_u32_e32 v10, vcc, s2, v2
	v_addc_co_u32_e32 v11, vcc, v4, v3, vcc
	global_load_dword v10, v[10:11], off
	s_waitcnt vmcnt(0)
	v_mul_f32_e32 v11, v10, v10
	v_mul_f32_e32 v11, v10, v11
	v_mov_b32_e32 v12, v10
	v_fmac_f32_e32 v12, 0x3d372713, v11
	v_mul_f32_e32 v11, 0x3f4c422a, v12
	v_cmp_nlt_f32_e64 s[6:7], |v11|, s3
                                        ; implicit-def: $vgpr12
	s_and_saveexec_b64 s[16:17], s[6:7]
	s_xor_b64 s[6:7], exec, s[16:17]
	s_cbranch_execz .LBB18_5
; %bb.4:                                ;   in Loop: Header=BB18_3 Depth=1
	v_add_f32_e64 v12, |v11|, |v11|
	v_mul_f32_e32 v13, 0x3fb8aa3b, v12
	v_rndne_f32_e32 v14, v13
	v_sub_f32_e32 v15, v13, v14
	v_fma_f32 v13, v12, s12, -v13
	v_fmac_f32_e32 v13, 0x32a5705f, v12
	v_add_f32_e32 v13, v15, v13
	v_cvt_i32_f32_e32 v14, v14
	v_exp_f32_e32 v13, v13
	v_cmp_ngt_f32_e32 vcc, s13, v12
	v_ldexp_f32 v13, v13, v14
	v_cndmask_b32_e32 v13, 0, v13, vcc
	v_cmp_nlt_f32_e32 vcc, s14, v12
	v_cndmask_b32_e32 v12, v9, v13, vcc
	v_add_f32_e32 v12, 1.0, v12
	v_rcp_f32_e32 v12, v12
	v_fma_f32 v12, v12, -2.0, 1.0
.LBB18_5:                               ;   in Loop: Header=BB18_3 Depth=1
	s_andn2_saveexec_b64 s[6:7], s[6:7]
	s_cbranch_execz .LBB18_2
; %bb.6:                                ;   in Loop: Header=BB18_3 Depth=1
	v_mul_f32_e32 v12, v11, v11
	v_mov_b32_e32 v13, 0x3ca908c9
	v_fmac_f32_e32 v13, 0xbbbac73d, v12
	v_fma_f32 v13, v12, v13, v5
	v_fma_f32 v13, v12, v13, v6
	;; [unrolled: 1-line block ×3, first 2 shown]
	v_mul_f32_e64 v13, |v11|, v13
	v_fma_f32 v12, v12, v13, |v11|
	s_branch .LBB18_2
.LBB18_7:
	s_endpgm
	.section	.rodata,"a",@progbits
	.p2align	6, 0x0
	.amdhsa_kernel _ZN4vllm17activation_kernelIfTnPFT_RKS1_EXadL_ZNS_15gelu_new_kernelIfEES1_S3_EEEEvPS1_PS2_i
		.amdhsa_group_segment_fixed_size 0
		.amdhsa_private_segment_fixed_size 0
		.amdhsa_kernarg_size 280
		.amdhsa_user_sgpr_count 6
		.amdhsa_user_sgpr_private_segment_buffer 1
		.amdhsa_user_sgpr_dispatch_ptr 0
		.amdhsa_user_sgpr_queue_ptr 0
		.amdhsa_user_sgpr_kernarg_segment_ptr 1
		.amdhsa_user_sgpr_dispatch_id 0
		.amdhsa_user_sgpr_flat_scratch_init 0
		.amdhsa_user_sgpr_private_segment_size 0
		.amdhsa_uses_dynamic_stack 0
		.amdhsa_system_sgpr_private_segment_wavefront_offset 0
		.amdhsa_system_sgpr_workgroup_id_x 1
		.amdhsa_system_sgpr_workgroup_id_y 0
		.amdhsa_system_sgpr_workgroup_id_z 0
		.amdhsa_system_sgpr_workgroup_info 0
		.amdhsa_system_vgpr_workitem_id 0
		.amdhsa_next_free_vgpr 16
		.amdhsa_next_free_sgpr 18
		.amdhsa_reserve_vcc 1
		.amdhsa_reserve_flat_scratch 0
		.amdhsa_float_round_mode_32 0
		.amdhsa_float_round_mode_16_64 0
		.amdhsa_float_denorm_mode_32 3
		.amdhsa_float_denorm_mode_16_64 3
		.amdhsa_dx10_clamp 1
		.amdhsa_ieee_mode 1
		.amdhsa_fp16_overflow 0
		.amdhsa_exception_fp_ieee_invalid_op 0
		.amdhsa_exception_fp_denorm_src 0
		.amdhsa_exception_fp_ieee_div_zero 0
		.amdhsa_exception_fp_ieee_overflow 0
		.amdhsa_exception_fp_ieee_underflow 0
		.amdhsa_exception_fp_ieee_inexact 0
		.amdhsa_exception_int_div_zero 0
	.end_amdhsa_kernel
	.section	.text._ZN4vllm17activation_kernelIfTnPFT_RKS1_EXadL_ZNS_15gelu_new_kernelIfEES1_S3_EEEEvPS1_PS2_i,"axG",@progbits,_ZN4vllm17activation_kernelIfTnPFT_RKS1_EXadL_ZNS_15gelu_new_kernelIfEES1_S3_EEEEvPS1_PS2_i,comdat
.Lfunc_end18:
	.size	_ZN4vllm17activation_kernelIfTnPFT_RKS1_EXadL_ZNS_15gelu_new_kernelIfEES1_S3_EEEEvPS1_PS2_i, .Lfunc_end18-_ZN4vllm17activation_kernelIfTnPFT_RKS1_EXadL_ZNS_15gelu_new_kernelIfEES1_S3_EEEEvPS1_PS2_i
                                        ; -- End function
	.set _ZN4vllm17activation_kernelIfTnPFT_RKS1_EXadL_ZNS_15gelu_new_kernelIfEES1_S3_EEEEvPS1_PS2_i.num_vgpr, 16
	.set _ZN4vllm17activation_kernelIfTnPFT_RKS1_EXadL_ZNS_15gelu_new_kernelIfEES1_S3_EEEEvPS1_PS2_i.num_agpr, 0
	.set _ZN4vllm17activation_kernelIfTnPFT_RKS1_EXadL_ZNS_15gelu_new_kernelIfEES1_S3_EEEEvPS1_PS2_i.numbered_sgpr, 18
	.set _ZN4vllm17activation_kernelIfTnPFT_RKS1_EXadL_ZNS_15gelu_new_kernelIfEES1_S3_EEEEvPS1_PS2_i.num_named_barrier, 0
	.set _ZN4vllm17activation_kernelIfTnPFT_RKS1_EXadL_ZNS_15gelu_new_kernelIfEES1_S3_EEEEvPS1_PS2_i.private_seg_size, 0
	.set _ZN4vllm17activation_kernelIfTnPFT_RKS1_EXadL_ZNS_15gelu_new_kernelIfEES1_S3_EEEEvPS1_PS2_i.uses_vcc, 1
	.set _ZN4vllm17activation_kernelIfTnPFT_RKS1_EXadL_ZNS_15gelu_new_kernelIfEES1_S3_EEEEvPS1_PS2_i.uses_flat_scratch, 0
	.set _ZN4vllm17activation_kernelIfTnPFT_RKS1_EXadL_ZNS_15gelu_new_kernelIfEES1_S3_EEEEvPS1_PS2_i.has_dyn_sized_stack, 0
	.set _ZN4vllm17activation_kernelIfTnPFT_RKS1_EXadL_ZNS_15gelu_new_kernelIfEES1_S3_EEEEvPS1_PS2_i.has_recursion, 0
	.set _ZN4vllm17activation_kernelIfTnPFT_RKS1_EXadL_ZNS_15gelu_new_kernelIfEES1_S3_EEEEvPS1_PS2_i.has_indirect_call, 0
	.section	.AMDGPU.csdata,"",@progbits
; Kernel info:
; codeLenInByte = 484
; TotalNumSgprs: 22
; NumVgprs: 16
; ScratchSize: 0
; MemoryBound: 0
; FloatMode: 240
; IeeeMode: 1
; LDSByteSize: 0 bytes/workgroup (compile time only)
; SGPRBlocks: 2
; VGPRBlocks: 3
; NumSGPRsForWavesPerEU: 22
; NumVGPRsForWavesPerEU: 16
; Occupancy: 10
; WaveLimiterHint : 0
; COMPUTE_PGM_RSRC2:SCRATCH_EN: 0
; COMPUTE_PGM_RSRC2:USER_SGPR: 6
; COMPUTE_PGM_RSRC2:TRAP_HANDLER: 0
; COMPUTE_PGM_RSRC2:TGID_X_EN: 1
; COMPUTE_PGM_RSRC2:TGID_Y_EN: 0
; COMPUTE_PGM_RSRC2:TGID_Z_EN: 0
; COMPUTE_PGM_RSRC2:TIDIG_COMP_CNT: 0
	.section	.text._ZN4vllm17activation_kernelIN3c104HalfETnPFT_RKS3_EXadL_ZNS_15gelu_new_kernelIS2_EES3_S5_EEEEvPS3_PS4_i,"axG",@progbits,_ZN4vllm17activation_kernelIN3c104HalfETnPFT_RKS3_EXadL_ZNS_15gelu_new_kernelIS2_EES3_S5_EEEEvPS3_PS4_i,comdat
	.protected	_ZN4vllm17activation_kernelIN3c104HalfETnPFT_RKS3_EXadL_ZNS_15gelu_new_kernelIS2_EES3_S5_EEEEvPS3_PS4_i ; -- Begin function _ZN4vllm17activation_kernelIN3c104HalfETnPFT_RKS3_EXadL_ZNS_15gelu_new_kernelIS2_EES3_S5_EEEEvPS3_PS4_i
	.globl	_ZN4vllm17activation_kernelIN3c104HalfETnPFT_RKS3_EXadL_ZNS_15gelu_new_kernelIS2_EES3_S5_EEEEvPS3_PS4_i
	.p2align	8
	.type	_ZN4vllm17activation_kernelIN3c104HalfETnPFT_RKS3_EXadL_ZNS_15gelu_new_kernelIS2_EES3_S5_EEEEvPS3_PS4_i,@function
_ZN4vllm17activation_kernelIN3c104HalfETnPFT_RKS3_EXadL_ZNS_15gelu_new_kernelIS2_EES3_S5_EEEEvPS3_PS4_i: ; @_ZN4vllm17activation_kernelIN3c104HalfETnPFT_RKS3_EXadL_ZNS_15gelu_new_kernelIS2_EES3_S5_EEEEvPS3_PS4_i
; %bb.0:
	s_load_dword s8, s[4:5], 0x10
	s_waitcnt lgkmcnt(0)
	v_cmp_gt_i32_e32 vcc, s8, v0
	s_and_saveexec_b64 s[0:1], vcc
	s_cbranch_execz .LBB19_7
; %bb.1:
	v_mov_b32_e32 v1, 0
	v_mov_b32_e32 v2, s6
	s_load_dwordx4 s[0:3], s[4:5], 0x0
	s_load_dword s7, s[4:5], 0x24
	v_mad_u64_u32 v[2:3], s[4:5], s8, v2, v[0:1]
	s_ashr_i32 s9, s8, 31
	s_mul_i32 s4, s9, s6
	v_add_u32_e32 v3, s4, v3
	s_waitcnt lgkmcnt(0)
	s_and_b32 s10, s7, 0xffff
	v_lshlrev_b64 v[2:3], 1, v[2:3]
	s_lshl_b32 s11, s10, 1
	s_mov_b64 s[4:5], 0
	v_mov_b32_e32 v4, s3
	s_mov_b32 s3, 0x3d372713
	s_mov_b32 s12, 0x3f4c422a
	;; [unrolled: 1-line block ×6, first 2 shown]
	v_mov_b32_e32 v5, 0xbd5c1c4e
	v_mov_b32_e32 v6, 0x3e088382
	;; [unrolled: 1-line block ×3, first 2 shown]
	s_movk_i32 s17, 0x7fff
	v_mov_b32_e32 v8, s1
	v_mov_b32_e32 v9, 0x7f800000
	s_branch .LBB19_3
.LBB19_2:                               ;   in Loop: Header=BB19_3 Depth=1
	s_or_b64 exec, exec, s[6:7]
	v_cvt_f16_f32_e32 v12, v12
	v_lshrrev_b32_e32 v11, 16, v11
	v_mul_f16_e32 v10, 0.5, v10
	v_bfi_b32 v11, s17, v12, v11
	v_add_f16_e32 v11, 1.0, v11
	v_mul_f16_e32 v12, v10, v11
	v_add_co_u32_e32 v10, vcc, s0, v2
	v_addc_co_u32_e32 v11, vcc, v8, v3, vcc
	v_add_co_u32_e32 v0, vcc, s10, v0
	v_addc_co_u32_e32 v1, vcc, 0, v1, vcc
	v_cmp_le_i64_e32 vcc, s[8:9], v[0:1]
	global_store_short v[10:11], v12, off
	s_or_b64 s[4:5], vcc, s[4:5]
	v_add_co_u32_e32 v2, vcc, s11, v2
	v_addc_co_u32_e32 v3, vcc, 0, v3, vcc
	s_andn2_b64 exec, exec, s[4:5]
	s_cbranch_execz .LBB19_7
.LBB19_3:                               ; =>This Inner Loop Header: Depth=1
	v_add_co_u32_e32 v10, vcc, s2, v2
	v_addc_co_u32_e32 v11, vcc, v4, v3, vcc
	global_load_ushort v10, v[10:11], off
                                        ; implicit-def: $vgpr12
	s_waitcnt vmcnt(0)
	v_mul_f16_e32 v11, v10, v10
	v_mul_f16_e32 v11, v10, v11
	v_fma_mixlo_f16 v11, v11, s3, 0 op_sel_hi:[1,0,0]
	v_add_f16_e32 v11, v10, v11
	v_fma_mixlo_f16 v11, v11, s12, 0 op_sel_hi:[1,0,0]
	v_cvt_f32_f16_e32 v11, v11
	v_cmp_nlt_f32_e64 s[6:7], |v11|, s13
	s_and_saveexec_b64 s[18:19], s[6:7]
	s_xor_b64 s[6:7], exec, s[18:19]
	s_cbranch_execz .LBB19_5
; %bb.4:                                ;   in Loop: Header=BB19_3 Depth=1
	v_add_f32_e64 v12, |v11|, |v11|
	v_mul_f32_e32 v13, 0x3fb8aa3b, v12
	v_rndne_f32_e32 v14, v13
	v_sub_f32_e32 v15, v13, v14
	v_fma_f32 v13, v12, s14, -v13
	v_fmac_f32_e32 v13, 0x32a5705f, v12
	v_add_f32_e32 v13, v15, v13
	v_cvt_i32_f32_e32 v14, v14
	v_exp_f32_e32 v13, v13
	v_cmp_ngt_f32_e32 vcc, s15, v12
	v_ldexp_f32 v13, v13, v14
	v_cndmask_b32_e32 v13, 0, v13, vcc
	v_cmp_nlt_f32_e32 vcc, s16, v12
	v_cndmask_b32_e32 v12, v9, v13, vcc
	v_add_f32_e32 v12, 1.0, v12
	v_rcp_f32_e32 v12, v12
	v_fma_f32 v12, v12, -2.0, 1.0
.LBB19_5:                               ;   in Loop: Header=BB19_3 Depth=1
	s_andn2_saveexec_b64 s[6:7], s[6:7]
	s_cbranch_execz .LBB19_2
; %bb.6:                                ;   in Loop: Header=BB19_3 Depth=1
	v_mul_f32_e32 v12, v11, v11
	v_mov_b32_e32 v13, 0x3ca908c9
	v_fmac_f32_e32 v13, 0xbbbac73d, v12
	v_fma_f32 v13, v12, v13, v5
	v_fma_f32 v13, v12, v13, v6
	v_fma_f32 v13, v12, v13, v7
	v_mul_f32_e64 v13, |v11|, v13
	v_fma_f32 v12, v12, v13, |v11|
	s_branch .LBB19_2
.LBB19_7:
	s_endpgm
	.section	.rodata,"a",@progbits
	.p2align	6, 0x0
	.amdhsa_kernel _ZN4vllm17activation_kernelIN3c104HalfETnPFT_RKS3_EXadL_ZNS_15gelu_new_kernelIS2_EES3_S5_EEEEvPS3_PS4_i
		.amdhsa_group_segment_fixed_size 0
		.amdhsa_private_segment_fixed_size 0
		.amdhsa_kernarg_size 280
		.amdhsa_user_sgpr_count 6
		.amdhsa_user_sgpr_private_segment_buffer 1
		.amdhsa_user_sgpr_dispatch_ptr 0
		.amdhsa_user_sgpr_queue_ptr 0
		.amdhsa_user_sgpr_kernarg_segment_ptr 1
		.amdhsa_user_sgpr_dispatch_id 0
		.amdhsa_user_sgpr_flat_scratch_init 0
		.amdhsa_user_sgpr_private_segment_size 0
		.amdhsa_uses_dynamic_stack 0
		.amdhsa_system_sgpr_private_segment_wavefront_offset 0
		.amdhsa_system_sgpr_workgroup_id_x 1
		.amdhsa_system_sgpr_workgroup_id_y 0
		.amdhsa_system_sgpr_workgroup_id_z 0
		.amdhsa_system_sgpr_workgroup_info 0
		.amdhsa_system_vgpr_workitem_id 0
		.amdhsa_next_free_vgpr 16
		.amdhsa_next_free_sgpr 20
		.amdhsa_reserve_vcc 1
		.amdhsa_reserve_flat_scratch 0
		.amdhsa_float_round_mode_32 0
		.amdhsa_float_round_mode_16_64 0
		.amdhsa_float_denorm_mode_32 3
		.amdhsa_float_denorm_mode_16_64 3
		.amdhsa_dx10_clamp 1
		.amdhsa_ieee_mode 1
		.amdhsa_fp16_overflow 0
		.amdhsa_exception_fp_ieee_invalid_op 0
		.amdhsa_exception_fp_denorm_src 0
		.amdhsa_exception_fp_ieee_div_zero 0
		.amdhsa_exception_fp_ieee_overflow 0
		.amdhsa_exception_fp_ieee_underflow 0
		.amdhsa_exception_fp_ieee_inexact 0
		.amdhsa_exception_int_div_zero 0
	.end_amdhsa_kernel
	.section	.text._ZN4vllm17activation_kernelIN3c104HalfETnPFT_RKS3_EXadL_ZNS_15gelu_new_kernelIS2_EES3_S5_EEEEvPS3_PS4_i,"axG",@progbits,_ZN4vllm17activation_kernelIN3c104HalfETnPFT_RKS3_EXadL_ZNS_15gelu_new_kernelIS2_EES3_S5_EEEEvPS3_PS4_i,comdat
.Lfunc_end19:
	.size	_ZN4vllm17activation_kernelIN3c104HalfETnPFT_RKS3_EXadL_ZNS_15gelu_new_kernelIS2_EES3_S5_EEEEvPS3_PS4_i, .Lfunc_end19-_ZN4vllm17activation_kernelIN3c104HalfETnPFT_RKS3_EXadL_ZNS_15gelu_new_kernelIS2_EES3_S5_EEEEvPS3_PS4_i
                                        ; -- End function
	.set _ZN4vllm17activation_kernelIN3c104HalfETnPFT_RKS3_EXadL_ZNS_15gelu_new_kernelIS2_EES3_S5_EEEEvPS3_PS4_i.num_vgpr, 16
	.set _ZN4vllm17activation_kernelIN3c104HalfETnPFT_RKS3_EXadL_ZNS_15gelu_new_kernelIS2_EES3_S5_EEEEvPS3_PS4_i.num_agpr, 0
	.set _ZN4vllm17activation_kernelIN3c104HalfETnPFT_RKS3_EXadL_ZNS_15gelu_new_kernelIS2_EES3_S5_EEEEvPS3_PS4_i.numbered_sgpr, 20
	.set _ZN4vllm17activation_kernelIN3c104HalfETnPFT_RKS3_EXadL_ZNS_15gelu_new_kernelIS2_EES3_S5_EEEEvPS3_PS4_i.num_named_barrier, 0
	.set _ZN4vllm17activation_kernelIN3c104HalfETnPFT_RKS3_EXadL_ZNS_15gelu_new_kernelIS2_EES3_S5_EEEEvPS3_PS4_i.private_seg_size, 0
	.set _ZN4vllm17activation_kernelIN3c104HalfETnPFT_RKS3_EXadL_ZNS_15gelu_new_kernelIS2_EES3_S5_EEEEvPS3_PS4_i.uses_vcc, 1
	.set _ZN4vllm17activation_kernelIN3c104HalfETnPFT_RKS3_EXadL_ZNS_15gelu_new_kernelIS2_EES3_S5_EEEEvPS3_PS4_i.uses_flat_scratch, 0
	.set _ZN4vllm17activation_kernelIN3c104HalfETnPFT_RKS3_EXadL_ZNS_15gelu_new_kernelIS2_EES3_S5_EEEEvPS3_PS4_i.has_dyn_sized_stack, 0
	.set _ZN4vllm17activation_kernelIN3c104HalfETnPFT_RKS3_EXadL_ZNS_15gelu_new_kernelIS2_EES3_S5_EEEEvPS3_PS4_i.has_recursion, 0
	.set _ZN4vllm17activation_kernelIN3c104HalfETnPFT_RKS3_EXadL_ZNS_15gelu_new_kernelIS2_EES3_S5_EEEEvPS3_PS4_i.has_indirect_call, 0
	.section	.AMDGPU.csdata,"",@progbits
; Kernel info:
; codeLenInByte = 512
; TotalNumSgprs: 24
; NumVgprs: 16
; ScratchSize: 0
; MemoryBound: 0
; FloatMode: 240
; IeeeMode: 1
; LDSByteSize: 0 bytes/workgroup (compile time only)
; SGPRBlocks: 2
; VGPRBlocks: 3
; NumSGPRsForWavesPerEU: 24
; NumVGPRsForWavesPerEU: 16
; Occupancy: 10
; WaveLimiterHint : 0
; COMPUTE_PGM_RSRC2:SCRATCH_EN: 0
; COMPUTE_PGM_RSRC2:USER_SGPR: 6
; COMPUTE_PGM_RSRC2:TRAP_HANDLER: 0
; COMPUTE_PGM_RSRC2:TGID_X_EN: 1
; COMPUTE_PGM_RSRC2:TGID_Y_EN: 0
; COMPUTE_PGM_RSRC2:TGID_Z_EN: 0
; COMPUTE_PGM_RSRC2:TIDIG_COMP_CNT: 0
	.section	.text._ZN4vllm17activation_kernelIN3c108BFloat16ETnPFT_RKS3_EXadL_ZNS_15gelu_new_kernelIS2_EES3_S5_EEEEvPS3_PS4_i,"axG",@progbits,_ZN4vllm17activation_kernelIN3c108BFloat16ETnPFT_RKS3_EXadL_ZNS_15gelu_new_kernelIS2_EES3_S5_EEEEvPS3_PS4_i,comdat
	.protected	_ZN4vllm17activation_kernelIN3c108BFloat16ETnPFT_RKS3_EXadL_ZNS_15gelu_new_kernelIS2_EES3_S5_EEEEvPS3_PS4_i ; -- Begin function _ZN4vllm17activation_kernelIN3c108BFloat16ETnPFT_RKS3_EXadL_ZNS_15gelu_new_kernelIS2_EES3_S5_EEEEvPS3_PS4_i
	.globl	_ZN4vllm17activation_kernelIN3c108BFloat16ETnPFT_RKS3_EXadL_ZNS_15gelu_new_kernelIS2_EES3_S5_EEEEvPS3_PS4_i
	.p2align	8
	.type	_ZN4vllm17activation_kernelIN3c108BFloat16ETnPFT_RKS3_EXadL_ZNS_15gelu_new_kernelIS2_EES3_S5_EEEEvPS3_PS4_i,@function
_ZN4vllm17activation_kernelIN3c108BFloat16ETnPFT_RKS3_EXadL_ZNS_15gelu_new_kernelIS2_EES3_S5_EEEEvPS3_PS4_i: ; @_ZN4vllm17activation_kernelIN3c108BFloat16ETnPFT_RKS3_EXadL_ZNS_15gelu_new_kernelIS2_EES3_S5_EEEEvPS3_PS4_i
; %bb.0:
	s_load_dword s8, s[4:5], 0x10
	s_waitcnt lgkmcnt(0)
	v_cmp_gt_i32_e32 vcc, s8, v0
	s_and_saveexec_b64 s[0:1], vcc
	s_cbranch_execz .LBB20_7
; %bb.1:
	v_mov_b32_e32 v1, 0
	v_mov_b32_e32 v2, s6
	s_load_dwordx4 s[0:3], s[4:5], 0x0
	s_load_dword s7, s[4:5], 0x24
	v_mad_u64_u32 v[2:3], s[4:5], s8, v2, v[0:1]
	s_ashr_i32 s9, s8, 31
	s_mul_i32 s4, s9, s6
	v_add_u32_e32 v3, s4, v3
	s_waitcnt lgkmcnt(0)
	s_and_b32 s10, s7, 0xffff
	v_lshlrev_b64 v[2:3], 1, v[2:3]
	s_lshl_b32 s11, s10, 1
	s_mov_b64 s[4:5], 0
	v_mov_b32_e32 v4, s3
	s_movk_i32 s3, 0x7fff
	v_mov_b32_e32 v5, 0x7fc00000
	s_mov_b32 s12, 0x3f200000
	s_mov_b32 s13, 0x3fb8aa3b
	;; [unrolled: 1-line block ×4, first 2 shown]
	v_mov_b32_e32 v6, 0xbd5c1c4e
	v_mov_b32_e32 v7, 0x3e088382
	;; [unrolled: 1-line block ×3, first 2 shown]
	s_brev_b32 s16, -2
	v_mov_b32_e32 v9, 0x7fc0
	v_mov_b32_e32 v10, s1
	v_mov_b32_e32 v11, 0x7f800000
	s_branch .LBB20_3
.LBB20_2:                               ;   in Loop: Header=BB20_3 Depth=1
	s_or_b64 exec, exec, s[6:7]
	v_bfi_b32 v13, s16, v14, v13
	v_bfe_u32 v14, v13, 16, 1
	v_add3_u32 v14, v13, v14, s3
	v_and_b32_e32 v14, 0xffff0000, v14
	v_mul_f32_e32 v12, 0.5, v12
	v_add_f32_e32 v14, 1.0, v14
	v_cmp_o_f32_e32 vcc, v13, v13
	v_bfe_u32 v15, v12, 16, 1
	v_cndmask_b32_e32 v13, v5, v14, vcc
	v_add3_u32 v15, v12, v15, s3
	v_bfe_u32 v14, v13, 16, 1
	v_and_b32_e32 v15, 0xffff0000, v15
	v_add3_u32 v14, v13, v14, s3
	v_cmp_o_f32_e32 vcc, v12, v12
	v_and_b32_e32 v14, 0xffff0000, v14
	v_cndmask_b32_e32 v12, v5, v15, vcc
	v_cmp_o_f32_e32 vcc, v13, v13
	v_cndmask_b32_e32 v13, v5, v14, vcc
	v_mul_f32_e32 v12, v12, v13
	v_bfe_u32 v13, v12, 16, 1
	v_add3_u32 v13, v12, v13, s3
	v_lshrrev_b32_e32 v13, 16, v13
	v_cmp_o_f32_e32 vcc, v12, v12
	v_cndmask_b32_e32 v14, v9, v13, vcc
	v_add_co_u32_e32 v12, vcc, s0, v2
	v_addc_co_u32_e32 v13, vcc, v10, v3, vcc
	v_add_co_u32_e32 v0, vcc, s10, v0
	v_addc_co_u32_e32 v1, vcc, 0, v1, vcc
	v_cmp_le_i64_e32 vcc, s[8:9], v[0:1]
	global_store_short v[12:13], v14, off
	s_or_b64 s[4:5], vcc, s[4:5]
	v_add_co_u32_e32 v2, vcc, s11, v2
	v_addc_co_u32_e32 v3, vcc, 0, v3, vcc
	s_andn2_b64 exec, exec, s[4:5]
	s_cbranch_execz .LBB20_7
.LBB20_3:                               ; =>This Inner Loop Header: Depth=1
	v_add_co_u32_e32 v12, vcc, s2, v2
	v_addc_co_u32_e32 v13, vcc, v4, v3, vcc
	global_load_ushort v12, v[12:13], off
	s_waitcnt vmcnt(0)
	v_lshlrev_b32_e32 v12, 16, v12
	v_mul_f32_e32 v13, v12, v12
	v_bfe_u32 v14, v13, 16, 1
	v_add3_u32 v14, v13, v14, s3
	v_and_b32_e32 v14, 0xffff0000, v14
	v_cmp_o_f32_e32 vcc, v13, v13
	v_cndmask_b32_e32 v13, v5, v14, vcc
	v_mul_f32_e32 v13, v13, v12
	v_bfe_u32 v14, v13, 16, 1
	v_add3_u32 v14, v13, v14, s3
	v_and_b32_e32 v14, 0xffff0000, v14
	v_mul_f32_e32 v14, 0x3d372713, v14
	v_cmp_o_f32_e32 vcc, v13, v13
	v_cndmask_b32_e32 v13, v5, v14, vcc
	v_bfe_u32 v14, v13, 16, 1
	v_add3_u32 v14, v13, v14, s3
	v_and_b32_e32 v14, 0xffff0000, v14
	v_cmp_o_f32_e32 vcc, v13, v13
	v_cndmask_b32_e32 v13, v5, v14, vcc
	v_add_f32_e32 v13, v13, v12
	v_bfe_u32 v14, v13, 16, 1
	v_add3_u32 v14, v13, v14, s3
	v_and_b32_e32 v14, 0xffff0000, v14
	v_mul_f32_e32 v14, 0x3f4c422a, v14
	v_cmp_o_f32_e32 vcc, v13, v13
	v_cndmask_b32_e32 v13, v5, v14, vcc
	v_bfe_u32 v14, v13, 16, 1
	v_add3_u32 v14, v13, v14, s3
	v_and_b32_e32 v14, 0xffff0000, v14
	v_cmp_o_f32_e32 vcc, v13, v13
	v_cndmask_b32_e32 v13, v5, v14, vcc
	v_cmp_nlt_f32_e64 s[6:7], |v13|, s12
                                        ; implicit-def: $vgpr14
	s_and_saveexec_b64 s[18:19], s[6:7]
	s_xor_b64 s[6:7], exec, s[18:19]
	s_cbranch_execz .LBB20_5
; %bb.4:                                ;   in Loop: Header=BB20_3 Depth=1
	v_add_f32_e64 v14, |v13|, |v13|
	v_mul_f32_e32 v15, 0x3fb8aa3b, v14
	v_rndne_f32_e32 v16, v15
	v_sub_f32_e32 v17, v15, v16
	v_fma_f32 v15, v14, s13, -v15
	v_fmac_f32_e32 v15, 0x32a5705f, v14
	v_add_f32_e32 v15, v17, v15
	v_cvt_i32_f32_e32 v16, v16
	v_exp_f32_e32 v15, v15
	v_cmp_ngt_f32_e32 vcc, s14, v14
	v_ldexp_f32 v15, v15, v16
	v_cndmask_b32_e32 v15, 0, v15, vcc
	v_cmp_nlt_f32_e32 vcc, s15, v14
	v_cndmask_b32_e32 v14, v11, v15, vcc
	v_add_f32_e32 v14, 1.0, v14
	v_rcp_f32_e32 v14, v14
	v_fma_f32 v14, v14, -2.0, 1.0
.LBB20_5:                               ;   in Loop: Header=BB20_3 Depth=1
	s_andn2_saveexec_b64 s[6:7], s[6:7]
	s_cbranch_execz .LBB20_2
; %bb.6:                                ;   in Loop: Header=BB20_3 Depth=1
	v_mul_f32_e32 v14, v13, v13
	v_mov_b32_e32 v15, 0x3ca908c9
	v_fmac_f32_e32 v15, 0xbbbac73d, v14
	v_fma_f32 v15, v14, v15, v6
	v_fma_f32 v15, v14, v15, v7
	;; [unrolled: 1-line block ×3, first 2 shown]
	v_mul_f32_e64 v15, |v13|, v15
	v_fma_f32 v14, v14, v15, |v13|
	s_branch .LBB20_2
.LBB20_7:
	s_endpgm
	.section	.rodata,"a",@progbits
	.p2align	6, 0x0
	.amdhsa_kernel _ZN4vllm17activation_kernelIN3c108BFloat16ETnPFT_RKS3_EXadL_ZNS_15gelu_new_kernelIS2_EES3_S5_EEEEvPS3_PS4_i
		.amdhsa_group_segment_fixed_size 0
		.amdhsa_private_segment_fixed_size 0
		.amdhsa_kernarg_size 280
		.amdhsa_user_sgpr_count 6
		.amdhsa_user_sgpr_private_segment_buffer 1
		.amdhsa_user_sgpr_dispatch_ptr 0
		.amdhsa_user_sgpr_queue_ptr 0
		.amdhsa_user_sgpr_kernarg_segment_ptr 1
		.amdhsa_user_sgpr_dispatch_id 0
		.amdhsa_user_sgpr_flat_scratch_init 0
		.amdhsa_user_sgpr_private_segment_size 0
		.amdhsa_uses_dynamic_stack 0
		.amdhsa_system_sgpr_private_segment_wavefront_offset 0
		.amdhsa_system_sgpr_workgroup_id_x 1
		.amdhsa_system_sgpr_workgroup_id_y 0
		.amdhsa_system_sgpr_workgroup_id_z 0
		.amdhsa_system_sgpr_workgroup_info 0
		.amdhsa_system_vgpr_workitem_id 0
		.amdhsa_next_free_vgpr 18
		.amdhsa_next_free_sgpr 20
		.amdhsa_reserve_vcc 1
		.amdhsa_reserve_flat_scratch 0
		.amdhsa_float_round_mode_32 0
		.amdhsa_float_round_mode_16_64 0
		.amdhsa_float_denorm_mode_32 3
		.amdhsa_float_denorm_mode_16_64 3
		.amdhsa_dx10_clamp 1
		.amdhsa_ieee_mode 1
		.amdhsa_fp16_overflow 0
		.amdhsa_exception_fp_ieee_invalid_op 0
		.amdhsa_exception_fp_denorm_src 0
		.amdhsa_exception_fp_ieee_div_zero 0
		.amdhsa_exception_fp_ieee_overflow 0
		.amdhsa_exception_fp_ieee_underflow 0
		.amdhsa_exception_fp_ieee_inexact 0
		.amdhsa_exception_int_div_zero 0
	.end_amdhsa_kernel
	.section	.text._ZN4vllm17activation_kernelIN3c108BFloat16ETnPFT_RKS3_EXadL_ZNS_15gelu_new_kernelIS2_EES3_S5_EEEEvPS3_PS4_i,"axG",@progbits,_ZN4vllm17activation_kernelIN3c108BFloat16ETnPFT_RKS3_EXadL_ZNS_15gelu_new_kernelIS2_EES3_S5_EEEEvPS3_PS4_i,comdat
.Lfunc_end20:
	.size	_ZN4vllm17activation_kernelIN3c108BFloat16ETnPFT_RKS3_EXadL_ZNS_15gelu_new_kernelIS2_EES3_S5_EEEEvPS3_PS4_i, .Lfunc_end20-_ZN4vllm17activation_kernelIN3c108BFloat16ETnPFT_RKS3_EXadL_ZNS_15gelu_new_kernelIS2_EES3_S5_EEEEvPS3_PS4_i
                                        ; -- End function
	.set _ZN4vllm17activation_kernelIN3c108BFloat16ETnPFT_RKS3_EXadL_ZNS_15gelu_new_kernelIS2_EES3_S5_EEEEvPS3_PS4_i.num_vgpr, 18
	.set _ZN4vllm17activation_kernelIN3c108BFloat16ETnPFT_RKS3_EXadL_ZNS_15gelu_new_kernelIS2_EES3_S5_EEEEvPS3_PS4_i.num_agpr, 0
	.set _ZN4vllm17activation_kernelIN3c108BFloat16ETnPFT_RKS3_EXadL_ZNS_15gelu_new_kernelIS2_EES3_S5_EEEEvPS3_PS4_i.numbered_sgpr, 20
	.set _ZN4vllm17activation_kernelIN3c108BFloat16ETnPFT_RKS3_EXadL_ZNS_15gelu_new_kernelIS2_EES3_S5_EEEEvPS3_PS4_i.num_named_barrier, 0
	.set _ZN4vllm17activation_kernelIN3c108BFloat16ETnPFT_RKS3_EXadL_ZNS_15gelu_new_kernelIS2_EES3_S5_EEEEvPS3_PS4_i.private_seg_size, 0
	.set _ZN4vllm17activation_kernelIN3c108BFloat16ETnPFT_RKS3_EXadL_ZNS_15gelu_new_kernelIS2_EES3_S5_EEEEvPS3_PS4_i.uses_vcc, 1
	.set _ZN4vllm17activation_kernelIN3c108BFloat16ETnPFT_RKS3_EXadL_ZNS_15gelu_new_kernelIS2_EES3_S5_EEEEvPS3_PS4_i.uses_flat_scratch, 0
	.set _ZN4vllm17activation_kernelIN3c108BFloat16ETnPFT_RKS3_EXadL_ZNS_15gelu_new_kernelIS2_EES3_S5_EEEEvPS3_PS4_i.has_dyn_sized_stack, 0
	.set _ZN4vllm17activation_kernelIN3c108BFloat16ETnPFT_RKS3_EXadL_ZNS_15gelu_new_kernelIS2_EES3_S5_EEEEvPS3_PS4_i.has_recursion, 0
	.set _ZN4vllm17activation_kernelIN3c108BFloat16ETnPFT_RKS3_EXadL_ZNS_15gelu_new_kernelIS2_EES3_S5_EEEEvPS3_PS4_i.has_indirect_call, 0
	.section	.AMDGPU.csdata,"",@progbits
; Kernel info:
; codeLenInByte = 792
; TotalNumSgprs: 24
; NumVgprs: 18
; ScratchSize: 0
; MemoryBound: 0
; FloatMode: 240
; IeeeMode: 1
; LDSByteSize: 0 bytes/workgroup (compile time only)
; SGPRBlocks: 2
; VGPRBlocks: 4
; NumSGPRsForWavesPerEU: 24
; NumVGPRsForWavesPerEU: 18
; Occupancy: 10
; WaveLimiterHint : 0
; COMPUTE_PGM_RSRC2:SCRATCH_EN: 0
; COMPUTE_PGM_RSRC2:USER_SGPR: 6
; COMPUTE_PGM_RSRC2:TRAP_HANDLER: 0
; COMPUTE_PGM_RSRC2:TGID_X_EN: 1
; COMPUTE_PGM_RSRC2:TGID_Y_EN: 0
; COMPUTE_PGM_RSRC2:TGID_Z_EN: 0
; COMPUTE_PGM_RSRC2:TIDIG_COMP_CNT: 0
	.section	.text._ZN4vllm17activation_kernelIfTnPFT_RKS1_EXadL_ZNS_16gelu_fast_kernelIfEES1_S3_EEEEvPS1_PS2_i,"axG",@progbits,_ZN4vllm17activation_kernelIfTnPFT_RKS1_EXadL_ZNS_16gelu_fast_kernelIfEES1_S3_EEEEvPS1_PS2_i,comdat
	.protected	_ZN4vllm17activation_kernelIfTnPFT_RKS1_EXadL_ZNS_16gelu_fast_kernelIfEES1_S3_EEEEvPS1_PS2_i ; -- Begin function _ZN4vllm17activation_kernelIfTnPFT_RKS1_EXadL_ZNS_16gelu_fast_kernelIfEES1_S3_EEEEvPS1_PS2_i
	.globl	_ZN4vllm17activation_kernelIfTnPFT_RKS1_EXadL_ZNS_16gelu_fast_kernelIfEES1_S3_EEEEvPS1_PS2_i
	.p2align	8
	.type	_ZN4vllm17activation_kernelIfTnPFT_RKS1_EXadL_ZNS_16gelu_fast_kernelIfEES1_S3_EEEEvPS1_PS2_i,@function
_ZN4vllm17activation_kernelIfTnPFT_RKS1_EXadL_ZNS_16gelu_fast_kernelIfEES1_S3_EEEEvPS1_PS2_i: ; @_ZN4vllm17activation_kernelIfTnPFT_RKS1_EXadL_ZNS_16gelu_fast_kernelIfEES1_S3_EEEEvPS1_PS2_i
; %bb.0:
	s_load_dword s8, s[4:5], 0x10
	s_waitcnt lgkmcnt(0)
	v_cmp_gt_i32_e32 vcc, s8, v0
	s_and_saveexec_b64 s[0:1], vcc
	s_cbranch_execz .LBB21_7
; %bb.1:
	v_mov_b32_e32 v1, 0
	v_mov_b32_e32 v2, s6
	s_load_dwordx4 s[0:3], s[4:5], 0x0
	s_load_dword s7, s[4:5], 0x24
	v_mad_u64_u32 v[2:3], s[4:5], s8, v2, v[0:1]
	s_ashr_i32 s9, s8, 31
	s_mul_i32 s4, s9, s6
	v_add_u32_e32 v3, s4, v3
	s_waitcnt lgkmcnt(0)
	s_and_b32 s10, s7, 0xffff
	v_lshlrev_b64 v[2:3], 2, v[2:3]
	s_lshl_b32 s11, s10, 2
	s_mov_b64 s[4:5], 0
	v_mov_b32_e32 v4, s3
	s_mov_b32 s3, 0x3f200000
	s_mov_b32 s12, 0x3fb8aa3b
	;; [unrolled: 1-line block ×4, first 2 shown]
	v_mov_b32_e32 v5, 0xbd5c1c4e
	v_mov_b32_e32 v6, 0x3e088382
	;; [unrolled: 1-line block ×3, first 2 shown]
	s_brev_b32 s15, -2
	v_mov_b32_e32 v8, s1
	v_mov_b32_e32 v9, 0x7f800000
	s_branch .LBB21_3
.LBB21_2:                               ;   in Loop: Header=BB21_3 Depth=1
	s_or_b64 exec, exec, s[6:7]
	v_bfi_b32 v11, s15, v12, v11
	v_mul_f32_e32 v10, 0.5, v10
	v_add_f32_e32 v11, 1.0, v11
	v_mul_f32_e32 v12, v10, v11
	v_add_co_u32_e32 v10, vcc, s0, v2
	v_addc_co_u32_e32 v11, vcc, v8, v3, vcc
	v_add_co_u32_e32 v0, vcc, s10, v0
	v_addc_co_u32_e32 v1, vcc, 0, v1, vcc
	v_cmp_le_i64_e32 vcc, s[8:9], v[0:1]
	global_store_dword v[10:11], v12, off
	s_or_b64 s[4:5], vcc, s[4:5]
	v_add_co_u32_e32 v2, vcc, s11, v2
	v_addc_co_u32_e32 v3, vcc, 0, v3, vcc
	s_andn2_b64 exec, exec, s[4:5]
	s_cbranch_execz .LBB21_7
.LBB21_3:                               ; =>This Inner Loop Header: Depth=1
	v_add_co_u32_e32 v10, vcc, s2, v2
	v_addc_co_u32_e32 v11, vcc, v4, v3, vcc
	global_load_dword v10, v[10:11], off
	s_waitcnt vmcnt(0)
	v_mul_f32_e32 v12, 0x3d372713, v10
	v_mul_f32_e32 v11, 0x3f4c422a, v10
	v_fma_f32 v12, v10, v12, 1.0
	v_mul_f32_e32 v11, v11, v12
	v_cmp_nlt_f32_e64 s[6:7], |v11|, s3
                                        ; implicit-def: $vgpr12
	s_and_saveexec_b64 s[16:17], s[6:7]
	s_xor_b64 s[6:7], exec, s[16:17]
	s_cbranch_execz .LBB21_5
; %bb.4:                                ;   in Loop: Header=BB21_3 Depth=1
	v_add_f32_e64 v12, |v11|, |v11|
	v_mul_f32_e32 v13, 0x3fb8aa3b, v12
	v_rndne_f32_e32 v14, v13
	v_sub_f32_e32 v15, v13, v14
	v_fma_f32 v13, v12, s12, -v13
	v_fmac_f32_e32 v13, 0x32a5705f, v12
	v_add_f32_e32 v13, v15, v13
	v_cvt_i32_f32_e32 v14, v14
	v_exp_f32_e32 v13, v13
	v_cmp_ngt_f32_e32 vcc, s13, v12
	v_ldexp_f32 v13, v13, v14
	v_cndmask_b32_e32 v13, 0, v13, vcc
	v_cmp_nlt_f32_e32 vcc, s14, v12
	v_cndmask_b32_e32 v12, v9, v13, vcc
	v_add_f32_e32 v12, 1.0, v12
	v_rcp_f32_e32 v12, v12
	v_fma_f32 v12, v12, -2.0, 1.0
.LBB21_5:                               ;   in Loop: Header=BB21_3 Depth=1
	s_andn2_saveexec_b64 s[6:7], s[6:7]
	s_cbranch_execz .LBB21_2
; %bb.6:                                ;   in Loop: Header=BB21_3 Depth=1
	v_mul_f32_e32 v12, v11, v11
	v_mov_b32_e32 v13, 0x3ca908c9
	v_fmac_f32_e32 v13, 0xbbbac73d, v12
	v_fma_f32 v13, v12, v13, v5
	v_fma_f32 v13, v12, v13, v6
	;; [unrolled: 1-line block ×3, first 2 shown]
	v_mul_f32_e64 v13, |v11|, v13
	v_fma_f32 v12, v12, v13, |v11|
	s_branch .LBB21_2
.LBB21_7:
	s_endpgm
	.section	.rodata,"a",@progbits
	.p2align	6, 0x0
	.amdhsa_kernel _ZN4vllm17activation_kernelIfTnPFT_RKS1_EXadL_ZNS_16gelu_fast_kernelIfEES1_S3_EEEEvPS1_PS2_i
		.amdhsa_group_segment_fixed_size 0
		.amdhsa_private_segment_fixed_size 0
		.amdhsa_kernarg_size 280
		.amdhsa_user_sgpr_count 6
		.amdhsa_user_sgpr_private_segment_buffer 1
		.amdhsa_user_sgpr_dispatch_ptr 0
		.amdhsa_user_sgpr_queue_ptr 0
		.amdhsa_user_sgpr_kernarg_segment_ptr 1
		.amdhsa_user_sgpr_dispatch_id 0
		.amdhsa_user_sgpr_flat_scratch_init 0
		.amdhsa_user_sgpr_private_segment_size 0
		.amdhsa_uses_dynamic_stack 0
		.amdhsa_system_sgpr_private_segment_wavefront_offset 0
		.amdhsa_system_sgpr_workgroup_id_x 1
		.amdhsa_system_sgpr_workgroup_id_y 0
		.amdhsa_system_sgpr_workgroup_id_z 0
		.amdhsa_system_sgpr_workgroup_info 0
		.amdhsa_system_vgpr_workitem_id 0
		.amdhsa_next_free_vgpr 16
		.amdhsa_next_free_sgpr 18
		.amdhsa_reserve_vcc 1
		.amdhsa_reserve_flat_scratch 0
		.amdhsa_float_round_mode_32 0
		.amdhsa_float_round_mode_16_64 0
		.amdhsa_float_denorm_mode_32 3
		.amdhsa_float_denorm_mode_16_64 3
		.amdhsa_dx10_clamp 1
		.amdhsa_ieee_mode 1
		.amdhsa_fp16_overflow 0
		.amdhsa_exception_fp_ieee_invalid_op 0
		.amdhsa_exception_fp_denorm_src 0
		.amdhsa_exception_fp_ieee_div_zero 0
		.amdhsa_exception_fp_ieee_overflow 0
		.amdhsa_exception_fp_ieee_underflow 0
		.amdhsa_exception_fp_ieee_inexact 0
		.amdhsa_exception_int_div_zero 0
	.end_amdhsa_kernel
	.section	.text._ZN4vllm17activation_kernelIfTnPFT_RKS1_EXadL_ZNS_16gelu_fast_kernelIfEES1_S3_EEEEvPS1_PS2_i,"axG",@progbits,_ZN4vllm17activation_kernelIfTnPFT_RKS1_EXadL_ZNS_16gelu_fast_kernelIfEES1_S3_EEEEvPS1_PS2_i,comdat
.Lfunc_end21:
	.size	_ZN4vllm17activation_kernelIfTnPFT_RKS1_EXadL_ZNS_16gelu_fast_kernelIfEES1_S3_EEEEvPS1_PS2_i, .Lfunc_end21-_ZN4vllm17activation_kernelIfTnPFT_RKS1_EXadL_ZNS_16gelu_fast_kernelIfEES1_S3_EEEEvPS1_PS2_i
                                        ; -- End function
	.set _ZN4vllm17activation_kernelIfTnPFT_RKS1_EXadL_ZNS_16gelu_fast_kernelIfEES1_S3_EEEEvPS1_PS2_i.num_vgpr, 16
	.set _ZN4vllm17activation_kernelIfTnPFT_RKS1_EXadL_ZNS_16gelu_fast_kernelIfEES1_S3_EEEEvPS1_PS2_i.num_agpr, 0
	.set _ZN4vllm17activation_kernelIfTnPFT_RKS1_EXadL_ZNS_16gelu_fast_kernelIfEES1_S3_EEEEvPS1_PS2_i.numbered_sgpr, 18
	.set _ZN4vllm17activation_kernelIfTnPFT_RKS1_EXadL_ZNS_16gelu_fast_kernelIfEES1_S3_EEEEvPS1_PS2_i.num_named_barrier, 0
	.set _ZN4vllm17activation_kernelIfTnPFT_RKS1_EXadL_ZNS_16gelu_fast_kernelIfEES1_S3_EEEEvPS1_PS2_i.private_seg_size, 0
	.set _ZN4vllm17activation_kernelIfTnPFT_RKS1_EXadL_ZNS_16gelu_fast_kernelIfEES1_S3_EEEEvPS1_PS2_i.uses_vcc, 1
	.set _ZN4vllm17activation_kernelIfTnPFT_RKS1_EXadL_ZNS_16gelu_fast_kernelIfEES1_S3_EEEEvPS1_PS2_i.uses_flat_scratch, 0
	.set _ZN4vllm17activation_kernelIfTnPFT_RKS1_EXadL_ZNS_16gelu_fast_kernelIfEES1_S3_EEEEvPS1_PS2_i.has_dyn_sized_stack, 0
	.set _ZN4vllm17activation_kernelIfTnPFT_RKS1_EXadL_ZNS_16gelu_fast_kernelIfEES1_S3_EEEEvPS1_PS2_i.has_recursion, 0
	.set _ZN4vllm17activation_kernelIfTnPFT_RKS1_EXadL_ZNS_16gelu_fast_kernelIfEES1_S3_EEEEvPS1_PS2_i.has_indirect_call, 0
	.section	.AMDGPU.csdata,"",@progbits
; Kernel info:
; codeLenInByte = 484
; TotalNumSgprs: 22
; NumVgprs: 16
; ScratchSize: 0
; MemoryBound: 0
; FloatMode: 240
; IeeeMode: 1
; LDSByteSize: 0 bytes/workgroup (compile time only)
; SGPRBlocks: 2
; VGPRBlocks: 3
; NumSGPRsForWavesPerEU: 22
; NumVGPRsForWavesPerEU: 16
; Occupancy: 10
; WaveLimiterHint : 0
; COMPUTE_PGM_RSRC2:SCRATCH_EN: 0
; COMPUTE_PGM_RSRC2:USER_SGPR: 6
; COMPUTE_PGM_RSRC2:TRAP_HANDLER: 0
; COMPUTE_PGM_RSRC2:TGID_X_EN: 1
; COMPUTE_PGM_RSRC2:TGID_Y_EN: 0
; COMPUTE_PGM_RSRC2:TGID_Z_EN: 0
; COMPUTE_PGM_RSRC2:TIDIG_COMP_CNT: 0
	.section	.text._ZN4vllm17activation_kernelIN3c104HalfETnPFT_RKS3_EXadL_ZNS_16gelu_fast_kernelIS2_EES3_S5_EEEEvPS3_PS4_i,"axG",@progbits,_ZN4vllm17activation_kernelIN3c104HalfETnPFT_RKS3_EXadL_ZNS_16gelu_fast_kernelIS2_EES3_S5_EEEEvPS3_PS4_i,comdat
	.protected	_ZN4vllm17activation_kernelIN3c104HalfETnPFT_RKS3_EXadL_ZNS_16gelu_fast_kernelIS2_EES3_S5_EEEEvPS3_PS4_i ; -- Begin function _ZN4vllm17activation_kernelIN3c104HalfETnPFT_RKS3_EXadL_ZNS_16gelu_fast_kernelIS2_EES3_S5_EEEEvPS3_PS4_i
	.globl	_ZN4vllm17activation_kernelIN3c104HalfETnPFT_RKS3_EXadL_ZNS_16gelu_fast_kernelIS2_EES3_S5_EEEEvPS3_PS4_i
	.p2align	8
	.type	_ZN4vllm17activation_kernelIN3c104HalfETnPFT_RKS3_EXadL_ZNS_16gelu_fast_kernelIS2_EES3_S5_EEEEvPS3_PS4_i,@function
_ZN4vllm17activation_kernelIN3c104HalfETnPFT_RKS3_EXadL_ZNS_16gelu_fast_kernelIS2_EES3_S5_EEEEvPS3_PS4_i: ; @_ZN4vllm17activation_kernelIN3c104HalfETnPFT_RKS3_EXadL_ZNS_16gelu_fast_kernelIS2_EES3_S5_EEEEvPS3_PS4_i
; %bb.0:
	s_load_dword s8, s[4:5], 0x10
	s_waitcnt lgkmcnt(0)
	v_cmp_gt_i32_e32 vcc, s8, v0
	s_and_saveexec_b64 s[0:1], vcc
	s_cbranch_execz .LBB22_7
; %bb.1:
	v_mov_b32_e32 v1, 0
	v_mov_b32_e32 v2, s6
	s_load_dwordx4 s[0:3], s[4:5], 0x0
	s_load_dword s7, s[4:5], 0x24
	v_mad_u64_u32 v[2:3], s[4:5], s8, v2, v[0:1]
	s_ashr_i32 s9, s8, 31
	s_mul_i32 s4, s9, s6
	v_add_u32_e32 v3, s4, v3
	s_waitcnt lgkmcnt(0)
	s_and_b32 s10, s7, 0xffff
	v_lshlrev_b64 v[2:3], 1, v[2:3]
	s_lshl_b32 s11, s10, 1
	s_mov_b64 s[4:5], 0
	v_mov_b32_e32 v4, s3
	s_mov_b32 s3, 0x3f4c422a
	s_mov_b32 s12, 0x3d372713
	;; [unrolled: 1-line block ×6, first 2 shown]
	v_mov_b32_e32 v5, 0xbd5c1c4e
	v_mov_b32_e32 v6, 0x3e088382
	;; [unrolled: 1-line block ×3, first 2 shown]
	s_movk_i32 s17, 0x7fff
	v_mov_b32_e32 v8, s1
	v_mov_b32_e32 v9, 0x7f800000
	s_branch .LBB22_3
.LBB22_2:                               ;   in Loop: Header=BB22_3 Depth=1
	s_or_b64 exec, exec, s[6:7]
	v_cvt_f16_f32_e32 v12, v12
	v_lshrrev_b32_e32 v11, 16, v11
	v_mul_f16_e32 v10, 0.5, v10
	v_bfi_b32 v11, s17, v12, v11
	v_add_f16_e32 v11, 1.0, v11
	v_mul_f16_e32 v12, v10, v11
	v_add_co_u32_e32 v10, vcc, s0, v2
	v_addc_co_u32_e32 v11, vcc, v8, v3, vcc
	v_add_co_u32_e32 v0, vcc, s10, v0
	v_addc_co_u32_e32 v1, vcc, 0, v1, vcc
	v_cmp_le_i64_e32 vcc, s[8:9], v[0:1]
	global_store_short v[10:11], v12, off
	s_or_b64 s[4:5], vcc, s[4:5]
	v_add_co_u32_e32 v2, vcc, s11, v2
	v_addc_co_u32_e32 v3, vcc, 0, v3, vcc
	s_andn2_b64 exec, exec, s[4:5]
	s_cbranch_execz .LBB22_7
.LBB22_3:                               ; =>This Inner Loop Header: Depth=1
	v_add_co_u32_e32 v10, vcc, s2, v2
	v_addc_co_u32_e32 v11, vcc, v4, v3, vcc
	global_load_ushort v10, v[10:11], off
	s_waitcnt vmcnt(0)
	v_fma_mixlo_f16 v12, v10, s12, 0 op_sel_hi:[1,0,0]
	v_fma_mixlo_f16 v11, v10, s3, 0 op_sel_hi:[1,0,0]
	v_fma_f16 v12, v10, v12, 1.0
	v_mul_f16_e32 v11, v12, v11
	v_cvt_f32_f16_e32 v11, v11
                                        ; implicit-def: $vgpr12
	v_cmp_nlt_f32_e64 s[6:7], |v11|, s13
	s_and_saveexec_b64 s[18:19], s[6:7]
	s_xor_b64 s[6:7], exec, s[18:19]
	s_cbranch_execz .LBB22_5
; %bb.4:                                ;   in Loop: Header=BB22_3 Depth=1
	v_add_f32_e64 v12, |v11|, |v11|
	v_mul_f32_e32 v13, 0x3fb8aa3b, v12
	v_rndne_f32_e32 v14, v13
	v_sub_f32_e32 v15, v13, v14
	v_fma_f32 v13, v12, s14, -v13
	v_fmac_f32_e32 v13, 0x32a5705f, v12
	v_add_f32_e32 v13, v15, v13
	v_cvt_i32_f32_e32 v14, v14
	v_exp_f32_e32 v13, v13
	v_cmp_ngt_f32_e32 vcc, s15, v12
	v_ldexp_f32 v13, v13, v14
	v_cndmask_b32_e32 v13, 0, v13, vcc
	v_cmp_nlt_f32_e32 vcc, s16, v12
	v_cndmask_b32_e32 v12, v9, v13, vcc
	v_add_f32_e32 v12, 1.0, v12
	v_rcp_f32_e32 v12, v12
	v_fma_f32 v12, v12, -2.0, 1.0
.LBB22_5:                               ;   in Loop: Header=BB22_3 Depth=1
	s_andn2_saveexec_b64 s[6:7], s[6:7]
	s_cbranch_execz .LBB22_2
; %bb.6:                                ;   in Loop: Header=BB22_3 Depth=1
	v_mul_f32_e32 v12, v11, v11
	v_mov_b32_e32 v13, 0x3ca908c9
	v_fmac_f32_e32 v13, 0xbbbac73d, v12
	v_fma_f32 v13, v12, v13, v5
	v_fma_f32 v13, v12, v13, v6
	;; [unrolled: 1-line block ×3, first 2 shown]
	v_mul_f32_e64 v13, |v11|, v13
	v_fma_f32 v12, v12, v13, |v11|
	s_branch .LBB22_2
.LBB22_7:
	s_endpgm
	.section	.rodata,"a",@progbits
	.p2align	6, 0x0
	.amdhsa_kernel _ZN4vllm17activation_kernelIN3c104HalfETnPFT_RKS3_EXadL_ZNS_16gelu_fast_kernelIS2_EES3_S5_EEEEvPS3_PS4_i
		.amdhsa_group_segment_fixed_size 0
		.amdhsa_private_segment_fixed_size 0
		.amdhsa_kernarg_size 280
		.amdhsa_user_sgpr_count 6
		.amdhsa_user_sgpr_private_segment_buffer 1
		.amdhsa_user_sgpr_dispatch_ptr 0
		.amdhsa_user_sgpr_queue_ptr 0
		.amdhsa_user_sgpr_kernarg_segment_ptr 1
		.amdhsa_user_sgpr_dispatch_id 0
		.amdhsa_user_sgpr_flat_scratch_init 0
		.amdhsa_user_sgpr_private_segment_size 0
		.amdhsa_uses_dynamic_stack 0
		.amdhsa_system_sgpr_private_segment_wavefront_offset 0
		.amdhsa_system_sgpr_workgroup_id_x 1
		.amdhsa_system_sgpr_workgroup_id_y 0
		.amdhsa_system_sgpr_workgroup_id_z 0
		.amdhsa_system_sgpr_workgroup_info 0
		.amdhsa_system_vgpr_workitem_id 0
		.amdhsa_next_free_vgpr 16
		.amdhsa_next_free_sgpr 20
		.amdhsa_reserve_vcc 1
		.amdhsa_reserve_flat_scratch 0
		.amdhsa_float_round_mode_32 0
		.amdhsa_float_round_mode_16_64 0
		.amdhsa_float_denorm_mode_32 3
		.amdhsa_float_denorm_mode_16_64 3
		.amdhsa_dx10_clamp 1
		.amdhsa_ieee_mode 1
		.amdhsa_fp16_overflow 0
		.amdhsa_exception_fp_ieee_invalid_op 0
		.amdhsa_exception_fp_denorm_src 0
		.amdhsa_exception_fp_ieee_div_zero 0
		.amdhsa_exception_fp_ieee_overflow 0
		.amdhsa_exception_fp_ieee_underflow 0
		.amdhsa_exception_fp_ieee_inexact 0
		.amdhsa_exception_int_div_zero 0
	.end_amdhsa_kernel
	.section	.text._ZN4vllm17activation_kernelIN3c104HalfETnPFT_RKS3_EXadL_ZNS_16gelu_fast_kernelIS2_EES3_S5_EEEEvPS3_PS4_i,"axG",@progbits,_ZN4vllm17activation_kernelIN3c104HalfETnPFT_RKS3_EXadL_ZNS_16gelu_fast_kernelIS2_EES3_S5_EEEEvPS3_PS4_i,comdat
.Lfunc_end22:
	.size	_ZN4vllm17activation_kernelIN3c104HalfETnPFT_RKS3_EXadL_ZNS_16gelu_fast_kernelIS2_EES3_S5_EEEEvPS3_PS4_i, .Lfunc_end22-_ZN4vllm17activation_kernelIN3c104HalfETnPFT_RKS3_EXadL_ZNS_16gelu_fast_kernelIS2_EES3_S5_EEEEvPS3_PS4_i
                                        ; -- End function
	.set _ZN4vllm17activation_kernelIN3c104HalfETnPFT_RKS3_EXadL_ZNS_16gelu_fast_kernelIS2_EES3_S5_EEEEvPS3_PS4_i.num_vgpr, 16
	.set _ZN4vllm17activation_kernelIN3c104HalfETnPFT_RKS3_EXadL_ZNS_16gelu_fast_kernelIS2_EES3_S5_EEEEvPS3_PS4_i.num_agpr, 0
	.set _ZN4vllm17activation_kernelIN3c104HalfETnPFT_RKS3_EXadL_ZNS_16gelu_fast_kernelIS2_EES3_S5_EEEEvPS3_PS4_i.numbered_sgpr, 20
	.set _ZN4vllm17activation_kernelIN3c104HalfETnPFT_RKS3_EXadL_ZNS_16gelu_fast_kernelIS2_EES3_S5_EEEEvPS3_PS4_i.num_named_barrier, 0
	.set _ZN4vllm17activation_kernelIN3c104HalfETnPFT_RKS3_EXadL_ZNS_16gelu_fast_kernelIS2_EES3_S5_EEEEvPS3_PS4_i.private_seg_size, 0
	.set _ZN4vllm17activation_kernelIN3c104HalfETnPFT_RKS3_EXadL_ZNS_16gelu_fast_kernelIS2_EES3_S5_EEEEvPS3_PS4_i.uses_vcc, 1
	.set _ZN4vllm17activation_kernelIN3c104HalfETnPFT_RKS3_EXadL_ZNS_16gelu_fast_kernelIS2_EES3_S5_EEEEvPS3_PS4_i.uses_flat_scratch, 0
	.set _ZN4vllm17activation_kernelIN3c104HalfETnPFT_RKS3_EXadL_ZNS_16gelu_fast_kernelIS2_EES3_S5_EEEEvPS3_PS4_i.has_dyn_sized_stack, 0
	.set _ZN4vllm17activation_kernelIN3c104HalfETnPFT_RKS3_EXadL_ZNS_16gelu_fast_kernelIS2_EES3_S5_EEEEvPS3_PS4_i.has_recursion, 0
	.set _ZN4vllm17activation_kernelIN3c104HalfETnPFT_RKS3_EXadL_ZNS_16gelu_fast_kernelIS2_EES3_S5_EEEEvPS3_PS4_i.has_indirect_call, 0
	.section	.AMDGPU.csdata,"",@progbits
; Kernel info:
; codeLenInByte = 512
; TotalNumSgprs: 24
; NumVgprs: 16
; ScratchSize: 0
; MemoryBound: 0
; FloatMode: 240
; IeeeMode: 1
; LDSByteSize: 0 bytes/workgroup (compile time only)
; SGPRBlocks: 2
; VGPRBlocks: 3
; NumSGPRsForWavesPerEU: 24
; NumVGPRsForWavesPerEU: 16
; Occupancy: 10
; WaveLimiterHint : 0
; COMPUTE_PGM_RSRC2:SCRATCH_EN: 0
; COMPUTE_PGM_RSRC2:USER_SGPR: 6
; COMPUTE_PGM_RSRC2:TRAP_HANDLER: 0
; COMPUTE_PGM_RSRC2:TGID_X_EN: 1
; COMPUTE_PGM_RSRC2:TGID_Y_EN: 0
; COMPUTE_PGM_RSRC2:TGID_Z_EN: 0
; COMPUTE_PGM_RSRC2:TIDIG_COMP_CNT: 0
	.section	.text._ZN4vllm17activation_kernelIN3c108BFloat16ETnPFT_RKS3_EXadL_ZNS_16gelu_fast_kernelIS2_EES3_S5_EEEEvPS3_PS4_i,"axG",@progbits,_ZN4vllm17activation_kernelIN3c108BFloat16ETnPFT_RKS3_EXadL_ZNS_16gelu_fast_kernelIS2_EES3_S5_EEEEvPS3_PS4_i,comdat
	.protected	_ZN4vllm17activation_kernelIN3c108BFloat16ETnPFT_RKS3_EXadL_ZNS_16gelu_fast_kernelIS2_EES3_S5_EEEEvPS3_PS4_i ; -- Begin function _ZN4vllm17activation_kernelIN3c108BFloat16ETnPFT_RKS3_EXadL_ZNS_16gelu_fast_kernelIS2_EES3_S5_EEEEvPS3_PS4_i
	.globl	_ZN4vllm17activation_kernelIN3c108BFloat16ETnPFT_RKS3_EXadL_ZNS_16gelu_fast_kernelIS2_EES3_S5_EEEEvPS3_PS4_i
	.p2align	8
	.type	_ZN4vllm17activation_kernelIN3c108BFloat16ETnPFT_RKS3_EXadL_ZNS_16gelu_fast_kernelIS2_EES3_S5_EEEEvPS3_PS4_i,@function
_ZN4vllm17activation_kernelIN3c108BFloat16ETnPFT_RKS3_EXadL_ZNS_16gelu_fast_kernelIS2_EES3_S5_EEEEvPS3_PS4_i: ; @_ZN4vllm17activation_kernelIN3c108BFloat16ETnPFT_RKS3_EXadL_ZNS_16gelu_fast_kernelIS2_EES3_S5_EEEEvPS3_PS4_i
; %bb.0:
	s_load_dword s8, s[4:5], 0x10
	s_waitcnt lgkmcnt(0)
	v_cmp_gt_i32_e32 vcc, s8, v0
	s_and_saveexec_b64 s[0:1], vcc
	s_cbranch_execz .LBB23_7
; %bb.1:
	v_mov_b32_e32 v1, 0
	v_mov_b32_e32 v2, s6
	s_load_dwordx4 s[0:3], s[4:5], 0x0
	s_load_dword s7, s[4:5], 0x24
	v_mad_u64_u32 v[2:3], s[4:5], s8, v2, v[0:1]
	s_ashr_i32 s9, s8, 31
	s_mul_i32 s4, s9, s6
	v_add_u32_e32 v3, s4, v3
	s_waitcnt lgkmcnt(0)
	s_and_b32 s10, s7, 0xffff
	v_lshlrev_b64 v[2:3], 1, v[2:3]
	s_lshl_b32 s11, s10, 1
	s_mov_b64 s[4:5], 0
	v_mov_b32_e32 v4, s3
	s_movk_i32 s3, 0x7fff
	v_mov_b32_e32 v5, 0x7fc00000
	s_mov_b32 s12, 0x3f200000
	s_mov_b32 s13, 0x3fb8aa3b
	;; [unrolled: 1-line block ×4, first 2 shown]
	v_mov_b32_e32 v6, 0xbd5c1c4e
	v_mov_b32_e32 v7, 0x3e088382
	v_mov_b32_e32 v8, 0xbeaaaa99
	s_brev_b32 s16, -2
	v_mov_b32_e32 v9, 0x7fc0
	v_mov_b32_e32 v10, s1
	v_mov_b32_e32 v11, 0x7f800000
	s_branch .LBB23_3
.LBB23_2:                               ;   in Loop: Header=BB23_3 Depth=1
	s_or_b64 exec, exec, s[6:7]
	v_bfi_b32 v13, s16, v14, v13
	v_bfe_u32 v14, v13, 16, 1
	v_add3_u32 v14, v13, v14, s3
	v_and_b32_e32 v14, 0xffff0000, v14
	v_mul_f32_e32 v12, 0.5, v12
	v_add_f32_e32 v14, 1.0, v14
	v_cmp_o_f32_e32 vcc, v13, v13
	v_bfe_u32 v15, v12, 16, 1
	v_cndmask_b32_e32 v13, v5, v14, vcc
	v_add3_u32 v15, v12, v15, s3
	v_bfe_u32 v14, v13, 16, 1
	v_and_b32_e32 v15, 0xffff0000, v15
	v_add3_u32 v14, v13, v14, s3
	v_cmp_o_f32_e32 vcc, v12, v12
	v_and_b32_e32 v14, 0xffff0000, v14
	v_cndmask_b32_e32 v12, v5, v15, vcc
	v_cmp_o_f32_e32 vcc, v13, v13
	v_cndmask_b32_e32 v13, v5, v14, vcc
	v_mul_f32_e32 v12, v12, v13
	v_bfe_u32 v13, v12, 16, 1
	v_add3_u32 v13, v12, v13, s3
	v_lshrrev_b32_e32 v13, 16, v13
	v_cmp_o_f32_e32 vcc, v12, v12
	v_cndmask_b32_e32 v14, v9, v13, vcc
	v_add_co_u32_e32 v12, vcc, s0, v2
	v_addc_co_u32_e32 v13, vcc, v10, v3, vcc
	v_add_co_u32_e32 v0, vcc, s10, v0
	v_addc_co_u32_e32 v1, vcc, 0, v1, vcc
	v_cmp_le_i64_e32 vcc, s[8:9], v[0:1]
	global_store_short v[12:13], v14, off
	s_or_b64 s[4:5], vcc, s[4:5]
	v_add_co_u32_e32 v2, vcc, s11, v2
	v_addc_co_u32_e32 v3, vcc, 0, v3, vcc
	s_andn2_b64 exec, exec, s[4:5]
	s_cbranch_execz .LBB23_7
.LBB23_3:                               ; =>This Inner Loop Header: Depth=1
	v_add_co_u32_e32 v12, vcc, s2, v2
	v_addc_co_u32_e32 v13, vcc, v4, v3, vcc
	global_load_ushort v12, v[12:13], off
	s_waitcnt vmcnt(0)
	v_lshlrev_b32_e32 v12, 16, v12
	v_mul_f32_e32 v14, 0x3d372713, v12
	v_bfe_u32 v16, v14, 16, 1
	v_mul_f32_e32 v13, 0x3f4c422a, v12
	v_add3_u32 v16, v14, v16, s3
	v_bfe_u32 v15, v13, 16, 1
	v_and_b32_e32 v16, 0xffff0000, v16
	v_cmp_o_f32_e32 vcc, v14, v14
	v_add3_u32 v15, v13, v15, s3
	v_cndmask_b32_e32 v14, v5, v16, vcc
	v_and_b32_e32 v15, 0xffff0000, v15
	v_cmp_o_f32_e32 vcc, v13, v13
	v_mul_f32_e32 v14, v14, v12
	v_cndmask_b32_e32 v13, v5, v15, vcc
	v_bfe_u32 v15, v14, 16, 1
	v_add3_u32 v15, v14, v15, s3
	v_and_b32_e32 v15, 0xffff0000, v15
	v_add_f32_e32 v15, 1.0, v15
	v_cmp_o_f32_e32 vcc, v14, v14
	v_cndmask_b32_e32 v14, v5, v15, vcc
	v_bfe_u32 v15, v14, 16, 1
	v_add3_u32 v15, v14, v15, s3
	v_and_b32_e32 v15, 0xffff0000, v15
	v_cmp_o_f32_e32 vcc, v14, v14
	v_cndmask_b32_e32 v14, v5, v15, vcc
	v_mul_f32_e32 v13, v13, v14
	v_bfe_u32 v14, v13, 16, 1
	v_add3_u32 v14, v13, v14, s3
	v_and_b32_e32 v14, 0xffff0000, v14
	v_cmp_o_f32_e32 vcc, v13, v13
	v_cndmask_b32_e32 v13, v5, v14, vcc
	v_cmp_nlt_f32_e64 s[6:7], |v13|, s12
                                        ; implicit-def: $vgpr14
	s_and_saveexec_b64 s[18:19], s[6:7]
	s_xor_b64 s[6:7], exec, s[18:19]
	s_cbranch_execz .LBB23_5
; %bb.4:                                ;   in Loop: Header=BB23_3 Depth=1
	v_add_f32_e64 v14, |v13|, |v13|
	v_mul_f32_e32 v15, 0x3fb8aa3b, v14
	v_rndne_f32_e32 v16, v15
	v_sub_f32_e32 v17, v15, v16
	v_fma_f32 v15, v14, s13, -v15
	v_fmac_f32_e32 v15, 0x32a5705f, v14
	v_add_f32_e32 v15, v17, v15
	v_cvt_i32_f32_e32 v16, v16
	v_exp_f32_e32 v15, v15
	v_cmp_ngt_f32_e32 vcc, s14, v14
	v_ldexp_f32 v15, v15, v16
	v_cndmask_b32_e32 v15, 0, v15, vcc
	v_cmp_nlt_f32_e32 vcc, s15, v14
	v_cndmask_b32_e32 v14, v11, v15, vcc
	v_add_f32_e32 v14, 1.0, v14
	v_rcp_f32_e32 v14, v14
	v_fma_f32 v14, v14, -2.0, 1.0
.LBB23_5:                               ;   in Loop: Header=BB23_3 Depth=1
	s_andn2_saveexec_b64 s[6:7], s[6:7]
	s_cbranch_execz .LBB23_2
; %bb.6:                                ;   in Loop: Header=BB23_3 Depth=1
	v_mul_f32_e32 v14, v13, v13
	v_mov_b32_e32 v15, 0x3ca908c9
	v_fmac_f32_e32 v15, 0xbbbac73d, v14
	v_fma_f32 v15, v14, v15, v6
	v_fma_f32 v15, v14, v15, v7
	;; [unrolled: 1-line block ×3, first 2 shown]
	v_mul_f32_e64 v15, |v13|, v15
	v_fma_f32 v14, v14, v15, |v13|
	s_branch .LBB23_2
.LBB23_7:
	s_endpgm
	.section	.rodata,"a",@progbits
	.p2align	6, 0x0
	.amdhsa_kernel _ZN4vllm17activation_kernelIN3c108BFloat16ETnPFT_RKS3_EXadL_ZNS_16gelu_fast_kernelIS2_EES3_S5_EEEEvPS3_PS4_i
		.amdhsa_group_segment_fixed_size 0
		.amdhsa_private_segment_fixed_size 0
		.amdhsa_kernarg_size 280
		.amdhsa_user_sgpr_count 6
		.amdhsa_user_sgpr_private_segment_buffer 1
		.amdhsa_user_sgpr_dispatch_ptr 0
		.amdhsa_user_sgpr_queue_ptr 0
		.amdhsa_user_sgpr_kernarg_segment_ptr 1
		.amdhsa_user_sgpr_dispatch_id 0
		.amdhsa_user_sgpr_flat_scratch_init 0
		.amdhsa_user_sgpr_private_segment_size 0
		.amdhsa_uses_dynamic_stack 0
		.amdhsa_system_sgpr_private_segment_wavefront_offset 0
		.amdhsa_system_sgpr_workgroup_id_x 1
		.amdhsa_system_sgpr_workgroup_id_y 0
		.amdhsa_system_sgpr_workgroup_id_z 0
		.amdhsa_system_sgpr_workgroup_info 0
		.amdhsa_system_vgpr_workitem_id 0
		.amdhsa_next_free_vgpr 18
		.amdhsa_next_free_sgpr 20
		.amdhsa_reserve_vcc 1
		.amdhsa_reserve_flat_scratch 0
		.amdhsa_float_round_mode_32 0
		.amdhsa_float_round_mode_16_64 0
		.amdhsa_float_denorm_mode_32 3
		.amdhsa_float_denorm_mode_16_64 3
		.amdhsa_dx10_clamp 1
		.amdhsa_ieee_mode 1
		.amdhsa_fp16_overflow 0
		.amdhsa_exception_fp_ieee_invalid_op 0
		.amdhsa_exception_fp_denorm_src 0
		.amdhsa_exception_fp_ieee_div_zero 0
		.amdhsa_exception_fp_ieee_overflow 0
		.amdhsa_exception_fp_ieee_underflow 0
		.amdhsa_exception_fp_ieee_inexact 0
		.amdhsa_exception_int_div_zero 0
	.end_amdhsa_kernel
	.section	.text._ZN4vllm17activation_kernelIN3c108BFloat16ETnPFT_RKS3_EXadL_ZNS_16gelu_fast_kernelIS2_EES3_S5_EEEEvPS3_PS4_i,"axG",@progbits,_ZN4vllm17activation_kernelIN3c108BFloat16ETnPFT_RKS3_EXadL_ZNS_16gelu_fast_kernelIS2_EES3_S5_EEEEvPS3_PS4_i,comdat
.Lfunc_end23:
	.size	_ZN4vllm17activation_kernelIN3c108BFloat16ETnPFT_RKS3_EXadL_ZNS_16gelu_fast_kernelIS2_EES3_S5_EEEEvPS3_PS4_i, .Lfunc_end23-_ZN4vllm17activation_kernelIN3c108BFloat16ETnPFT_RKS3_EXadL_ZNS_16gelu_fast_kernelIS2_EES3_S5_EEEEvPS3_PS4_i
                                        ; -- End function
	.set _ZN4vllm17activation_kernelIN3c108BFloat16ETnPFT_RKS3_EXadL_ZNS_16gelu_fast_kernelIS2_EES3_S5_EEEEvPS3_PS4_i.num_vgpr, 18
	.set _ZN4vllm17activation_kernelIN3c108BFloat16ETnPFT_RKS3_EXadL_ZNS_16gelu_fast_kernelIS2_EES3_S5_EEEEvPS3_PS4_i.num_agpr, 0
	.set _ZN4vllm17activation_kernelIN3c108BFloat16ETnPFT_RKS3_EXadL_ZNS_16gelu_fast_kernelIS2_EES3_S5_EEEEvPS3_PS4_i.numbered_sgpr, 20
	.set _ZN4vllm17activation_kernelIN3c108BFloat16ETnPFT_RKS3_EXadL_ZNS_16gelu_fast_kernelIS2_EES3_S5_EEEEvPS3_PS4_i.num_named_barrier, 0
	.set _ZN4vllm17activation_kernelIN3c108BFloat16ETnPFT_RKS3_EXadL_ZNS_16gelu_fast_kernelIS2_EES3_S5_EEEEvPS3_PS4_i.private_seg_size, 0
	.set _ZN4vllm17activation_kernelIN3c108BFloat16ETnPFT_RKS3_EXadL_ZNS_16gelu_fast_kernelIS2_EES3_S5_EEEEvPS3_PS4_i.uses_vcc, 1
	.set _ZN4vllm17activation_kernelIN3c108BFloat16ETnPFT_RKS3_EXadL_ZNS_16gelu_fast_kernelIS2_EES3_S5_EEEEvPS3_PS4_i.uses_flat_scratch, 0
	.set _ZN4vllm17activation_kernelIN3c108BFloat16ETnPFT_RKS3_EXadL_ZNS_16gelu_fast_kernelIS2_EES3_S5_EEEEvPS3_PS4_i.has_dyn_sized_stack, 0
	.set _ZN4vllm17activation_kernelIN3c108BFloat16ETnPFT_RKS3_EXadL_ZNS_16gelu_fast_kernelIS2_EES3_S5_EEEEvPS3_PS4_i.has_recursion, 0
	.set _ZN4vllm17activation_kernelIN3c108BFloat16ETnPFT_RKS3_EXadL_ZNS_16gelu_fast_kernelIS2_EES3_S5_EEEEvPS3_PS4_i.has_indirect_call, 0
	.section	.AMDGPU.csdata,"",@progbits
; Kernel info:
; codeLenInByte = 792
; TotalNumSgprs: 24
; NumVgprs: 18
; ScratchSize: 0
; MemoryBound: 0
; FloatMode: 240
; IeeeMode: 1
; LDSByteSize: 0 bytes/workgroup (compile time only)
; SGPRBlocks: 2
; VGPRBlocks: 4
; NumSGPRsForWavesPerEU: 24
; NumVGPRsForWavesPerEU: 18
; Occupancy: 10
; WaveLimiterHint : 0
; COMPUTE_PGM_RSRC2:SCRATCH_EN: 0
; COMPUTE_PGM_RSRC2:USER_SGPR: 6
; COMPUTE_PGM_RSRC2:TRAP_HANDLER: 0
; COMPUTE_PGM_RSRC2:TGID_X_EN: 1
; COMPUTE_PGM_RSRC2:TGID_Y_EN: 0
; COMPUTE_PGM_RSRC2:TGID_Z_EN: 0
; COMPUTE_PGM_RSRC2:TIDIG_COMP_CNT: 0
	.section	.text._ZN4vllm17activation_kernelIfTnPFT_RKS1_EXadL_ZNS_17gelu_quick_kernelIfEES1_S3_EEEEvPS1_PS2_i,"axG",@progbits,_ZN4vllm17activation_kernelIfTnPFT_RKS1_EXadL_ZNS_17gelu_quick_kernelIfEES1_S3_EEEEvPS1_PS2_i,comdat
	.protected	_ZN4vllm17activation_kernelIfTnPFT_RKS1_EXadL_ZNS_17gelu_quick_kernelIfEES1_S3_EEEEvPS1_PS2_i ; -- Begin function _ZN4vllm17activation_kernelIfTnPFT_RKS1_EXadL_ZNS_17gelu_quick_kernelIfEES1_S3_EEEEvPS1_PS2_i
	.globl	_ZN4vllm17activation_kernelIfTnPFT_RKS1_EXadL_ZNS_17gelu_quick_kernelIfEES1_S3_EEEEvPS1_PS2_i
	.p2align	8
	.type	_ZN4vllm17activation_kernelIfTnPFT_RKS1_EXadL_ZNS_17gelu_quick_kernelIfEES1_S3_EEEEvPS1_PS2_i,@function
_ZN4vllm17activation_kernelIfTnPFT_RKS1_EXadL_ZNS_17gelu_quick_kernelIfEES1_S3_EEEEvPS1_PS2_i: ; @_ZN4vllm17activation_kernelIfTnPFT_RKS1_EXadL_ZNS_17gelu_quick_kernelIfEES1_S3_EEEEvPS1_PS2_i
; %bb.0:
	s_load_dword s8, s[4:5], 0x10
	s_waitcnt lgkmcnt(0)
	v_cmp_gt_i32_e32 vcc, s8, v0
	s_and_saveexec_b64 s[0:1], vcc
	s_cbranch_execz .LBB24_3
; %bb.1:
	v_mov_b32_e32 v1, 0
	v_mov_b32_e32 v2, s6
	s_load_dwordx4 s[0:3], s[4:5], 0x0
	s_load_dword s7, s[4:5], 0x24
	v_mad_u64_u32 v[2:3], s[4:5], s8, v2, v[0:1]
	s_ashr_i32 s9, s8, 31
	s_mul_i32 s4, s9, s6
	v_add_u32_e32 v3, s4, v3
	s_waitcnt lgkmcnt(0)
	s_and_b32 s7, s7, 0xffff
	v_lshlrev_b64 v[2:3], 2, v[2:3]
	s_lshl_b32 s6, s7, 2
	s_mov_b64 s[4:5], 0
	v_mov_b32_e32 v4, s3
	s_mov_b32 s3, 0x3fb8aa3b
	s_mov_b32 s10, 0xc2ce8ed0
	;; [unrolled: 1-line block ×3, first 2 shown]
	v_mov_b32_e32 v5, 0x7f800000
	v_mov_b32_e32 v6, s1
.LBB24_2:                               ; =>This Inner Loop Header: Depth=1
	v_add_co_u32_e32 v7, vcc, s2, v2
	v_addc_co_u32_e32 v8, vcc, v4, v3, vcc
	global_load_dword v9, v[7:8], off
	s_waitcnt vmcnt(0)
	v_mul_f32_e32 v7, 0xbfd9db23, v9
	v_mul_f32_e32 v8, 0x3fb8aa3b, v7
	v_fma_f32 v10, v7, s3, -v8
	v_rndne_f32_e32 v11, v8
	v_fmac_f32_e32 v10, 0x32a5705f, v7
	v_sub_f32_e32 v8, v8, v11
	v_add_f32_e32 v8, v8, v10
	v_cvt_i32_f32_e32 v11, v11
	v_exp_f32_e32 v8, v8
	v_cmp_ngt_f32_e32 vcc, s10, v7
	v_ldexp_f32 v8, v8, v11
	v_cndmask_b32_e32 v8, 0, v8, vcc
	v_cmp_nlt_f32_e32 vcc, s11, v7
	v_cndmask_b32_e32 v7, v5, v8, vcc
	v_add_f32_e32 v10, 1.0, v7
	v_div_scale_f32 v7, s[12:13], v10, v10, v9
	v_div_scale_f32 v8, vcc, v9, v10, v9
	v_rcp_f32_e32 v11, v7
	v_fma_f32 v12, -v7, v11, 1.0
	v_fmac_f32_e32 v11, v12, v11
	v_mul_f32_e32 v12, v8, v11
	v_fma_f32 v13, -v7, v12, v8
	v_fmac_f32_e32 v12, v13, v11
	v_fma_f32 v7, -v7, v12, v8
	v_div_fmas_f32 v11, v7, v11, v12
	v_add_co_u32_e32 v7, vcc, s0, v2
	v_addc_co_u32_e32 v8, vcc, v6, v3, vcc
	v_add_co_u32_e32 v0, vcc, s7, v0
	v_addc_co_u32_e32 v1, vcc, 0, v1, vcc
	;; [unrolled: 2-line block ×3, first 2 shown]
	v_cmp_le_i64_e32 vcc, s[8:9], v[0:1]
	s_or_b64 s[4:5], vcc, s[4:5]
	v_div_fixup_f32 v9, v11, v10, v9
	global_store_dword v[7:8], v9, off
	s_andn2_b64 exec, exec, s[4:5]
	s_cbranch_execnz .LBB24_2
.LBB24_3:
	s_endpgm
	.section	.rodata,"a",@progbits
	.p2align	6, 0x0
	.amdhsa_kernel _ZN4vllm17activation_kernelIfTnPFT_RKS1_EXadL_ZNS_17gelu_quick_kernelIfEES1_S3_EEEEvPS1_PS2_i
		.amdhsa_group_segment_fixed_size 0
		.amdhsa_private_segment_fixed_size 0
		.amdhsa_kernarg_size 280
		.amdhsa_user_sgpr_count 6
		.amdhsa_user_sgpr_private_segment_buffer 1
		.amdhsa_user_sgpr_dispatch_ptr 0
		.amdhsa_user_sgpr_queue_ptr 0
		.amdhsa_user_sgpr_kernarg_segment_ptr 1
		.amdhsa_user_sgpr_dispatch_id 0
		.amdhsa_user_sgpr_flat_scratch_init 0
		.amdhsa_user_sgpr_private_segment_size 0
		.amdhsa_uses_dynamic_stack 0
		.amdhsa_system_sgpr_private_segment_wavefront_offset 0
		.amdhsa_system_sgpr_workgroup_id_x 1
		.amdhsa_system_sgpr_workgroup_id_y 0
		.amdhsa_system_sgpr_workgroup_id_z 0
		.amdhsa_system_sgpr_workgroup_info 0
		.amdhsa_system_vgpr_workitem_id 0
		.amdhsa_next_free_vgpr 14
		.amdhsa_next_free_sgpr 14
		.amdhsa_reserve_vcc 1
		.amdhsa_reserve_flat_scratch 0
		.amdhsa_float_round_mode_32 0
		.amdhsa_float_round_mode_16_64 0
		.amdhsa_float_denorm_mode_32 3
		.amdhsa_float_denorm_mode_16_64 3
		.amdhsa_dx10_clamp 1
		.amdhsa_ieee_mode 1
		.amdhsa_fp16_overflow 0
		.amdhsa_exception_fp_ieee_invalid_op 0
		.amdhsa_exception_fp_denorm_src 0
		.amdhsa_exception_fp_ieee_div_zero 0
		.amdhsa_exception_fp_ieee_overflow 0
		.amdhsa_exception_fp_ieee_underflow 0
		.amdhsa_exception_fp_ieee_inexact 0
		.amdhsa_exception_int_div_zero 0
	.end_amdhsa_kernel
	.section	.text._ZN4vllm17activation_kernelIfTnPFT_RKS1_EXadL_ZNS_17gelu_quick_kernelIfEES1_S3_EEEEvPS1_PS2_i,"axG",@progbits,_ZN4vllm17activation_kernelIfTnPFT_RKS1_EXadL_ZNS_17gelu_quick_kernelIfEES1_S3_EEEEvPS1_PS2_i,comdat
.Lfunc_end24:
	.size	_ZN4vllm17activation_kernelIfTnPFT_RKS1_EXadL_ZNS_17gelu_quick_kernelIfEES1_S3_EEEEvPS1_PS2_i, .Lfunc_end24-_ZN4vllm17activation_kernelIfTnPFT_RKS1_EXadL_ZNS_17gelu_quick_kernelIfEES1_S3_EEEEvPS1_PS2_i
                                        ; -- End function
	.set _ZN4vllm17activation_kernelIfTnPFT_RKS1_EXadL_ZNS_17gelu_quick_kernelIfEES1_S3_EEEEvPS1_PS2_i.num_vgpr, 14
	.set _ZN4vllm17activation_kernelIfTnPFT_RKS1_EXadL_ZNS_17gelu_quick_kernelIfEES1_S3_EEEEvPS1_PS2_i.num_agpr, 0
	.set _ZN4vllm17activation_kernelIfTnPFT_RKS1_EXadL_ZNS_17gelu_quick_kernelIfEES1_S3_EEEEvPS1_PS2_i.numbered_sgpr, 14
	.set _ZN4vllm17activation_kernelIfTnPFT_RKS1_EXadL_ZNS_17gelu_quick_kernelIfEES1_S3_EEEEvPS1_PS2_i.num_named_barrier, 0
	.set _ZN4vllm17activation_kernelIfTnPFT_RKS1_EXadL_ZNS_17gelu_quick_kernelIfEES1_S3_EEEEvPS1_PS2_i.private_seg_size, 0
	.set _ZN4vllm17activation_kernelIfTnPFT_RKS1_EXadL_ZNS_17gelu_quick_kernelIfEES1_S3_EEEEvPS1_PS2_i.uses_vcc, 1
	.set _ZN4vllm17activation_kernelIfTnPFT_RKS1_EXadL_ZNS_17gelu_quick_kernelIfEES1_S3_EEEEvPS1_PS2_i.uses_flat_scratch, 0
	.set _ZN4vllm17activation_kernelIfTnPFT_RKS1_EXadL_ZNS_17gelu_quick_kernelIfEES1_S3_EEEEvPS1_PS2_i.has_dyn_sized_stack, 0
	.set _ZN4vllm17activation_kernelIfTnPFT_RKS1_EXadL_ZNS_17gelu_quick_kernelIfEES1_S3_EEEEvPS1_PS2_i.has_recursion, 0
	.set _ZN4vllm17activation_kernelIfTnPFT_RKS1_EXadL_ZNS_17gelu_quick_kernelIfEES1_S3_EEEEvPS1_PS2_i.has_indirect_call, 0
	.section	.AMDGPU.csdata,"",@progbits
; Kernel info:
; codeLenInByte = 360
; TotalNumSgprs: 18
; NumVgprs: 14
; ScratchSize: 0
; MemoryBound: 0
; FloatMode: 240
; IeeeMode: 1
; LDSByteSize: 0 bytes/workgroup (compile time only)
; SGPRBlocks: 2
; VGPRBlocks: 3
; NumSGPRsForWavesPerEU: 18
; NumVGPRsForWavesPerEU: 14
; Occupancy: 10
; WaveLimiterHint : 0
; COMPUTE_PGM_RSRC2:SCRATCH_EN: 0
; COMPUTE_PGM_RSRC2:USER_SGPR: 6
; COMPUTE_PGM_RSRC2:TRAP_HANDLER: 0
; COMPUTE_PGM_RSRC2:TGID_X_EN: 1
; COMPUTE_PGM_RSRC2:TGID_Y_EN: 0
; COMPUTE_PGM_RSRC2:TGID_Z_EN: 0
; COMPUTE_PGM_RSRC2:TIDIG_COMP_CNT: 0
	.section	.text._ZN4vllm17activation_kernelIN3c104HalfETnPFT_RKS3_EXadL_ZNS_17gelu_quick_kernelIS2_EES3_S5_EEEEvPS3_PS4_i,"axG",@progbits,_ZN4vllm17activation_kernelIN3c104HalfETnPFT_RKS3_EXadL_ZNS_17gelu_quick_kernelIS2_EES3_S5_EEEEvPS3_PS4_i,comdat
	.protected	_ZN4vllm17activation_kernelIN3c104HalfETnPFT_RKS3_EXadL_ZNS_17gelu_quick_kernelIS2_EES3_S5_EEEEvPS3_PS4_i ; -- Begin function _ZN4vllm17activation_kernelIN3c104HalfETnPFT_RKS3_EXadL_ZNS_17gelu_quick_kernelIS2_EES3_S5_EEEEvPS3_PS4_i
	.globl	_ZN4vllm17activation_kernelIN3c104HalfETnPFT_RKS3_EXadL_ZNS_17gelu_quick_kernelIS2_EES3_S5_EEEEvPS3_PS4_i
	.p2align	8
	.type	_ZN4vllm17activation_kernelIN3c104HalfETnPFT_RKS3_EXadL_ZNS_17gelu_quick_kernelIS2_EES3_S5_EEEEvPS3_PS4_i,@function
_ZN4vllm17activation_kernelIN3c104HalfETnPFT_RKS3_EXadL_ZNS_17gelu_quick_kernelIS2_EES3_S5_EEEEvPS3_PS4_i: ; @_ZN4vllm17activation_kernelIN3c104HalfETnPFT_RKS3_EXadL_ZNS_17gelu_quick_kernelIS2_EES3_S5_EEEEvPS3_PS4_i
; %bb.0:
	s_load_dword s2, s[4:5], 0x10
	s_waitcnt lgkmcnt(0)
	v_cmp_gt_i32_e32 vcc, s2, v0
	s_and_saveexec_b64 s[0:1], vcc
	s_cbranch_execz .LBB25_8
; %bb.1:
	v_mov_b32_e32 v1, 0
	s_ashr_i32 s3, s2, 31
	v_add_u32_e32 v2, 1, v0
	v_mov_b32_e32 v3, v1
	s_load_dwordx4 s[8:11], s[4:5], 0x0
	s_load_dword s0, s[4:5], 0x24
	v_cmp_lt_i64_e32 vcc, s[2:3], v[2:3]
	v_mov_b32_e32 v4, s3
	v_cndmask_b32_e64 v3, v4, 0, vcc
	v_mov_b32_e32 v4, s2
	v_cndmask_b32_e32 v2, v4, v2, vcc
	s_mul_hi_u32 s7, s2, s6
	s_mul_i32 s1, s3, s6
	v_sub_co_u32_e32 v2, vcc, v2, v0
	s_add_i32 s7, s7, s1
	s_mul_i32 s12, s2, s6
	s_waitcnt lgkmcnt(0)
	s_and_b32 s6, s0, 0xffff
	v_subbrev_co_u32_e32 v3, vcc, 0, v3, vcc
	v_cmp_lt_u64_e32 vcc, 1, v[2:3]
	s_cmp_eq_u32 s6, 1
	s_cselect_b64 s[0:1], -1, 0
	s_and_b64 s[14:15], vcc, s[0:1]
	s_mov_b64 s[0:1], -1
	s_and_saveexec_b64 s[4:5], s[14:15]
	s_cbranch_execz .LBB25_5
; %bb.2:
	v_mov_b32_e32 v1, s7
	v_add_co_u32_e32 v6, vcc, s12, v0
	v_addc_co_u32_e32 v7, vcc, 0, v1, vcc
	v_lshlrev_b64 v[8:9], 1, v[6:7]
	v_mov_b32_e32 v1, s11
	v_add_co_u32_e32 v6, vcc, s10, v8
	v_mov_b32_e32 v5, v3
	v_addc_co_u32_e32 v7, vcc, v1, v9, vcc
	v_and_b32_e32 v4, -2, v2
	v_mov_b32_e32 v1, s9
	v_add_co_u32_e32 v8, vcc, s8, v8
	v_mov_b32_e32 v11, v5
	v_addc_co_u32_e32 v9, vcc, v1, v9, vcc
	s_mov_b64 s[0:1], 0
	s_mov_b32 s13, 0x3fb8aa3b
	s_mov_b32 s14, 0xc2ce8ed0
	s_mov_b32 s15, 0x42b17218
	v_mov_b32_e32 v1, 0x7f800000
	v_mov_b32_e32 v10, v4
.LBB25_3:                               ; =>This Inner Loop Header: Depth=1
	global_load_dword v12, v[6:7], off
	s_waitcnt vmcnt(0)
	v_cvt_f32_f16_sdwa v13, v12 dst_sel:DWORD dst_unused:UNUSED_PAD src0_sel:WORD_1
	v_cvt_f32_f16_e32 v12, v12
	v_mul_f32_e32 v15, 0xbfd9db23, v13
	v_mul_f32_e32 v16, 0x3fb8aa3b, v15
	v_fma_f32 v17, v15, s13, -v16
	v_rndne_f32_e32 v18, v16
	v_fmac_f32_e32 v17, 0x32a5705f, v15
	v_sub_f32_e32 v16, v16, v18
	v_add_f32_e32 v16, v16, v17
	v_exp_f32_e32 v16, v16
	v_cvt_i32_f32_e32 v17, v18
	v_cmp_ngt_f32_e32 vcc, s14, v15
	v_mul_f32_e32 v14, 0xbfd9db23, v12
	v_ldexp_f32 v16, v16, v17
	v_cndmask_b32_e32 v16, 0, v16, vcc
	v_cmp_nlt_f32_e32 vcc, s15, v15
	v_cndmask_b32_e32 v15, v1, v16, vcc
	v_mul_f32_e32 v16, 0x3fb8aa3b, v14
	v_fma_f32 v17, v14, s13, -v16
	v_rndne_f32_e32 v18, v16
	v_fmac_f32_e32 v17, 0x32a5705f, v14
	v_sub_f32_e32 v16, v16, v18
	v_add_f32_e32 v16, v16, v17
	v_exp_f32_e32 v16, v16
	v_cvt_i32_f32_e32 v17, v18
	v_cmp_ngt_f32_e32 vcc, s14, v14
	v_add_f32_e32 v15, 1.0, v15
	v_ldexp_f32 v16, v16, v17
	v_cndmask_b32_e32 v16, 0, v16, vcc
	v_cmp_nlt_f32_e32 vcc, s15, v14
	v_cndmask_b32_e32 v14, v1, v16, vcc
	v_div_scale_f32 v16, s[16:17], v15, v15, v13
	v_add_f32_e32 v14, 1.0, v14
	v_rcp_f32_e32 v17, v16
	v_fma_f32 v18, -v16, v17, 1.0
	v_fmac_f32_e32 v17, v18, v17
	v_div_scale_f32 v18, vcc, v13, v15, v13
	v_mul_f32_e32 v19, v18, v17
	v_fma_f32 v20, -v16, v19, v18
	v_fmac_f32_e32 v19, v20, v17
	v_fma_f32 v16, -v16, v19, v18
	v_div_fmas_f32 v16, v16, v17, v19
	v_div_fixup_f32 v13, v16, v15, v13
	v_div_scale_f32 v15, s[16:17], v14, v14, v12
	v_cvt_f16_f32_e32 v13, v13
	v_rcp_f32_e32 v16, v15
	v_fma_f32 v17, -v15, v16, 1.0
	v_fmac_f32_e32 v16, v17, v16
	v_div_scale_f32 v17, vcc, v12, v14, v12
	v_mul_f32_e32 v18, v17, v16
	v_fma_f32 v19, -v15, v18, v17
	v_fmac_f32_e32 v18, v19, v16
	v_fma_f32 v15, -v15, v18, v17
	v_div_fmas_f32 v15, v15, v16, v18
	v_add_co_u32_e32 v6, vcc, 4, v6
	v_addc_co_u32_e32 v7, vcc, 0, v7, vcc
	v_div_fixup_f32 v12, v15, v14, v12
	v_cvt_f16_f32_e32 v12, v12
	v_pack_b32_f16 v12, v12, v13
	global_store_dword v[8:9], v12, off
	v_add_co_u32_e32 v8, vcc, 4, v8
	v_addc_co_u32_e32 v9, vcc, 0, v9, vcc
	v_add_co_u32_e32 v10, vcc, -2, v10
	v_addc_co_u32_e32 v11, vcc, -1, v11, vcc
	v_cmp_eq_u64_e32 vcc, 0, v[10:11]
	s_or_b64 s[0:1], vcc, s[0:1]
	s_andn2_b64 exec, exec, s[0:1]
	s_cbranch_execnz .LBB25_3
; %bb.4:
	s_or_b64 exec, exec, s[0:1]
	v_cmp_ne_u64_e32 vcc, v[2:3], v[4:5]
	v_add_co_u32_e64 v0, s[0:1], v4, v0
	v_addc_co_u32_e64 v1, s[0:1], 0, v5, s[0:1]
	s_orn2_b64 s[0:1], vcc, exec
.LBB25_5:
	s_or_b64 exec, exec, s[4:5]
	s_and_b64 exec, exec, s[0:1]
	s_cbranch_execz .LBB25_8
; %bb.6:
	v_mov_b32_e32 v3, s7
	v_add_co_u32_e32 v2, vcc, s12, v0
	v_addc_co_u32_e32 v3, vcc, v1, v3, vcc
	v_lshlrev_b64 v[2:3], 1, v[2:3]
	s_lshl_b32 s7, s6, 1
	s_mov_b64 s[4:5], 0
	v_mov_b32_e32 v4, s11
	s_mov_b32 s11, 0x3fb8aa3b
	s_mov_b32 s12, 0xc2ce8ed0
	;; [unrolled: 1-line block ×3, first 2 shown]
	v_mov_b32_e32 v5, 0x7f800000
	v_mov_b32_e32 v6, s9
.LBB25_7:                               ; =>This Inner Loop Header: Depth=1
	v_add_co_u32_e32 v7, vcc, s10, v2
	v_addc_co_u32_e32 v8, vcc, v4, v3, vcc
	global_load_ushort v7, v[7:8], off
	s_waitcnt vmcnt(0)
	v_cvt_f32_f16_e32 v9, v7
	v_mul_f32_e32 v7, 0xbfd9db23, v9
	v_mul_f32_e32 v8, 0x3fb8aa3b, v7
	v_fma_f32 v10, v7, s11, -v8
	v_rndne_f32_e32 v11, v8
	v_fmac_f32_e32 v10, 0x32a5705f, v7
	v_sub_f32_e32 v8, v8, v11
	v_add_f32_e32 v8, v8, v10
	v_cvt_i32_f32_e32 v11, v11
	v_exp_f32_e32 v8, v8
	v_cmp_ngt_f32_e32 vcc, s12, v7
	v_ldexp_f32 v8, v8, v11
	v_cndmask_b32_e32 v8, 0, v8, vcc
	v_cmp_nlt_f32_e32 vcc, s13, v7
	v_cndmask_b32_e32 v7, v5, v8, vcc
	v_add_f32_e32 v10, 1.0, v7
	v_div_scale_f32 v7, s[0:1], v10, v10, v9
	v_div_scale_f32 v8, vcc, v9, v10, v9
	v_rcp_f32_e32 v11, v7
	v_fma_f32 v12, -v7, v11, 1.0
	v_fmac_f32_e32 v11, v12, v11
	v_mul_f32_e32 v12, v8, v11
	v_fma_f32 v13, -v7, v12, v8
	v_fmac_f32_e32 v12, v13, v11
	v_fma_f32 v7, -v7, v12, v8
	v_div_fmas_f32 v11, v7, v11, v12
	v_add_co_u32_e32 v7, vcc, s8, v2
	v_addc_co_u32_e32 v8, vcc, v6, v3, vcc
	v_add_co_u32_e32 v0, vcc, s6, v0
	v_addc_co_u32_e32 v1, vcc, 0, v1, vcc
	v_cmp_le_i64_e64 s[0:1], s[2:3], v[0:1]
	v_add_co_u32_e32 v2, vcc, s7, v2
	v_addc_co_u32_e32 v3, vcc, 0, v3, vcc
	s_or_b64 s[4:5], s[0:1], s[4:5]
	v_div_fixup_f32 v9, v11, v10, v9
	v_cvt_f16_f32_e32 v9, v9
	global_store_short v[7:8], v9, off
	s_andn2_b64 exec, exec, s[4:5]
	s_cbranch_execnz .LBB25_7
.LBB25_8:
	s_endpgm
	.section	.rodata,"a",@progbits
	.p2align	6, 0x0
	.amdhsa_kernel _ZN4vllm17activation_kernelIN3c104HalfETnPFT_RKS3_EXadL_ZNS_17gelu_quick_kernelIS2_EES3_S5_EEEEvPS3_PS4_i
		.amdhsa_group_segment_fixed_size 0
		.amdhsa_private_segment_fixed_size 0
		.amdhsa_kernarg_size 280
		.amdhsa_user_sgpr_count 6
		.amdhsa_user_sgpr_private_segment_buffer 1
		.amdhsa_user_sgpr_dispatch_ptr 0
		.amdhsa_user_sgpr_queue_ptr 0
		.amdhsa_user_sgpr_kernarg_segment_ptr 1
		.amdhsa_user_sgpr_dispatch_id 0
		.amdhsa_user_sgpr_flat_scratch_init 0
		.amdhsa_user_sgpr_private_segment_size 0
		.amdhsa_uses_dynamic_stack 0
		.amdhsa_system_sgpr_private_segment_wavefront_offset 0
		.amdhsa_system_sgpr_workgroup_id_x 1
		.amdhsa_system_sgpr_workgroup_id_y 0
		.amdhsa_system_sgpr_workgroup_id_z 0
		.amdhsa_system_sgpr_workgroup_info 0
		.amdhsa_system_vgpr_workitem_id 0
		.amdhsa_next_free_vgpr 21
		.amdhsa_next_free_sgpr 18
		.amdhsa_reserve_vcc 1
		.amdhsa_reserve_flat_scratch 0
		.amdhsa_float_round_mode_32 0
		.amdhsa_float_round_mode_16_64 0
		.amdhsa_float_denorm_mode_32 3
		.amdhsa_float_denorm_mode_16_64 3
		.amdhsa_dx10_clamp 1
		.amdhsa_ieee_mode 1
		.amdhsa_fp16_overflow 0
		.amdhsa_exception_fp_ieee_invalid_op 0
		.amdhsa_exception_fp_denorm_src 0
		.amdhsa_exception_fp_ieee_div_zero 0
		.amdhsa_exception_fp_ieee_overflow 0
		.amdhsa_exception_fp_ieee_underflow 0
		.amdhsa_exception_fp_ieee_inexact 0
		.amdhsa_exception_int_div_zero 0
	.end_amdhsa_kernel
	.section	.text._ZN4vllm17activation_kernelIN3c104HalfETnPFT_RKS3_EXadL_ZNS_17gelu_quick_kernelIS2_EES3_S5_EEEEvPS3_PS4_i,"axG",@progbits,_ZN4vllm17activation_kernelIN3c104HalfETnPFT_RKS3_EXadL_ZNS_17gelu_quick_kernelIS2_EES3_S5_EEEEvPS3_PS4_i,comdat
.Lfunc_end25:
	.size	_ZN4vllm17activation_kernelIN3c104HalfETnPFT_RKS3_EXadL_ZNS_17gelu_quick_kernelIS2_EES3_S5_EEEEvPS3_PS4_i, .Lfunc_end25-_ZN4vllm17activation_kernelIN3c104HalfETnPFT_RKS3_EXadL_ZNS_17gelu_quick_kernelIS2_EES3_S5_EEEEvPS3_PS4_i
                                        ; -- End function
	.set _ZN4vllm17activation_kernelIN3c104HalfETnPFT_RKS3_EXadL_ZNS_17gelu_quick_kernelIS2_EES3_S5_EEEEvPS3_PS4_i.num_vgpr, 21
	.set _ZN4vllm17activation_kernelIN3c104HalfETnPFT_RKS3_EXadL_ZNS_17gelu_quick_kernelIS2_EES3_S5_EEEEvPS3_PS4_i.num_agpr, 0
	.set _ZN4vllm17activation_kernelIN3c104HalfETnPFT_RKS3_EXadL_ZNS_17gelu_quick_kernelIS2_EES3_S5_EEEEvPS3_PS4_i.numbered_sgpr, 18
	.set _ZN4vllm17activation_kernelIN3c104HalfETnPFT_RKS3_EXadL_ZNS_17gelu_quick_kernelIS2_EES3_S5_EEEEvPS3_PS4_i.num_named_barrier, 0
	.set _ZN4vllm17activation_kernelIN3c104HalfETnPFT_RKS3_EXadL_ZNS_17gelu_quick_kernelIS2_EES3_S5_EEEEvPS3_PS4_i.private_seg_size, 0
	.set _ZN4vllm17activation_kernelIN3c104HalfETnPFT_RKS3_EXadL_ZNS_17gelu_quick_kernelIS2_EES3_S5_EEEEvPS3_PS4_i.uses_vcc, 1
	.set _ZN4vllm17activation_kernelIN3c104HalfETnPFT_RKS3_EXadL_ZNS_17gelu_quick_kernelIS2_EES3_S5_EEEEvPS3_PS4_i.uses_flat_scratch, 0
	.set _ZN4vllm17activation_kernelIN3c104HalfETnPFT_RKS3_EXadL_ZNS_17gelu_quick_kernelIS2_EES3_S5_EEEEvPS3_PS4_i.has_dyn_sized_stack, 0
	.set _ZN4vllm17activation_kernelIN3c104HalfETnPFT_RKS3_EXadL_ZNS_17gelu_quick_kernelIS2_EES3_S5_EEEEvPS3_PS4_i.has_recursion, 0
	.set _ZN4vllm17activation_kernelIN3c104HalfETnPFT_RKS3_EXadL_ZNS_17gelu_quick_kernelIS2_EES3_S5_EEEEvPS3_PS4_i.has_indirect_call, 0
	.section	.AMDGPU.csdata,"",@progbits
; Kernel info:
; codeLenInByte = 976
; TotalNumSgprs: 22
; NumVgprs: 21
; ScratchSize: 0
; MemoryBound: 0
; FloatMode: 240
; IeeeMode: 1
; LDSByteSize: 0 bytes/workgroup (compile time only)
; SGPRBlocks: 2
; VGPRBlocks: 5
; NumSGPRsForWavesPerEU: 22
; NumVGPRsForWavesPerEU: 21
; Occupancy: 10
; WaveLimiterHint : 0
; COMPUTE_PGM_RSRC2:SCRATCH_EN: 0
; COMPUTE_PGM_RSRC2:USER_SGPR: 6
; COMPUTE_PGM_RSRC2:TRAP_HANDLER: 0
; COMPUTE_PGM_RSRC2:TGID_X_EN: 1
; COMPUTE_PGM_RSRC2:TGID_Y_EN: 0
; COMPUTE_PGM_RSRC2:TGID_Z_EN: 0
; COMPUTE_PGM_RSRC2:TIDIG_COMP_CNT: 0
	.section	.text._ZN4vllm17activation_kernelIN3c108BFloat16ETnPFT_RKS3_EXadL_ZNS_17gelu_quick_kernelIS2_EES3_S5_EEEEvPS3_PS4_i,"axG",@progbits,_ZN4vllm17activation_kernelIN3c108BFloat16ETnPFT_RKS3_EXadL_ZNS_17gelu_quick_kernelIS2_EES3_S5_EEEEvPS3_PS4_i,comdat
	.protected	_ZN4vllm17activation_kernelIN3c108BFloat16ETnPFT_RKS3_EXadL_ZNS_17gelu_quick_kernelIS2_EES3_S5_EEEEvPS3_PS4_i ; -- Begin function _ZN4vllm17activation_kernelIN3c108BFloat16ETnPFT_RKS3_EXadL_ZNS_17gelu_quick_kernelIS2_EES3_S5_EEEEvPS3_PS4_i
	.globl	_ZN4vllm17activation_kernelIN3c108BFloat16ETnPFT_RKS3_EXadL_ZNS_17gelu_quick_kernelIS2_EES3_S5_EEEEvPS3_PS4_i
	.p2align	8
	.type	_ZN4vllm17activation_kernelIN3c108BFloat16ETnPFT_RKS3_EXadL_ZNS_17gelu_quick_kernelIS2_EES3_S5_EEEEvPS3_PS4_i,@function
_ZN4vllm17activation_kernelIN3c108BFloat16ETnPFT_RKS3_EXadL_ZNS_17gelu_quick_kernelIS2_EES3_S5_EEEEvPS3_PS4_i: ; @_ZN4vllm17activation_kernelIN3c108BFloat16ETnPFT_RKS3_EXadL_ZNS_17gelu_quick_kernelIS2_EES3_S5_EEEEvPS3_PS4_i
; %bb.0:
	s_load_dword s2, s[4:5], 0x10
	s_waitcnt lgkmcnt(0)
	v_cmp_gt_i32_e32 vcc, s2, v0
	s_and_saveexec_b64 s[0:1], vcc
	s_cbranch_execz .LBB26_8
; %bb.1:
	v_mov_b32_e32 v1, 0
	s_ashr_i32 s3, s2, 31
	v_add_u32_e32 v2, 1, v0
	v_mov_b32_e32 v3, v1
	s_load_dwordx4 s[8:11], s[4:5], 0x0
	s_load_dword s0, s[4:5], 0x24
	v_cmp_lt_i64_e32 vcc, s[2:3], v[2:3]
	v_mov_b32_e32 v4, s3
	v_cndmask_b32_e64 v3, v4, 0, vcc
	v_mov_b32_e32 v4, s2
	v_cndmask_b32_e32 v2, v4, v2, vcc
	s_mul_hi_u32 s7, s2, s6
	s_mul_i32 s1, s3, s6
	v_sub_co_u32_e32 v2, vcc, v2, v0
	s_add_i32 s7, s7, s1
	s_mul_i32 s12, s2, s6
	s_waitcnt lgkmcnt(0)
	s_and_b32 s6, s0, 0xffff
	v_subbrev_co_u32_e32 v3, vcc, 0, v3, vcc
	v_cmp_lt_u64_e32 vcc, 1, v[2:3]
	s_cmp_eq_u32 s6, 1
	s_cselect_b64 s[0:1], -1, 0
	s_and_b64 s[14:15], vcc, s[0:1]
	s_mov_b64 s[0:1], -1
	s_and_saveexec_b64 s[4:5], s[14:15]
	s_cbranch_execz .LBB26_5
; %bb.2:
	v_mov_b32_e32 v1, s7
	v_add_co_u32_e32 v6, vcc, s12, v0
	v_addc_co_u32_e32 v7, vcc, 0, v1, vcc
	v_lshlrev_b64 v[8:9], 1, v[6:7]
	v_mov_b32_e32 v1, s11
	v_add_co_u32_e32 v6, vcc, s10, v8
	v_mov_b32_e32 v5, v3
	v_addc_co_u32_e32 v7, vcc, v1, v9, vcc
	v_and_b32_e32 v4, -2, v2
	v_mov_b32_e32 v1, s9
	v_add_co_u32_e32 v8, vcc, s8, v8
	v_mov_b32_e32 v11, v5
	v_addc_co_u32_e32 v9, vcc, v1, v9, vcc
	s_mov_b64 s[0:1], 0
	s_mov_b32 s13, 0x3fb8aa3b
	s_mov_b32 s14, 0xc2ce8ed0
	;; [unrolled: 1-line block ×3, first 2 shown]
	v_mov_b32_e32 v1, 0x7f800000
	s_movk_i32 s16, 0x7fff
	v_mov_b32_e32 v12, 0x7fc0
	s_mov_b32 s17, 0x5040100
	v_mov_b32_e32 v13, 1
	v_mov_b32_e32 v10, v4
.LBB26_3:                               ; =>This Inner Loop Header: Depth=1
	global_load_dword v14, v[6:7], off
	s_waitcnt vmcnt(0)
	v_and_b32_e32 v15, 0xffff0000, v14
	v_lshlrev_b32_e32 v14, 16, v14
	v_mul_f32_e32 v17, 0xbfd9db23, v14
	v_mul_f32_e32 v18, 0x3fb8aa3b, v17
	v_fma_f32 v19, v17, s13, -v18
	v_rndne_f32_e32 v20, v18
	v_fmac_f32_e32 v19, 0x32a5705f, v17
	v_sub_f32_e32 v18, v18, v20
	v_add_f32_e32 v18, v18, v19
	v_exp_f32_e32 v18, v18
	v_cvt_i32_f32_e32 v19, v20
	v_cmp_ngt_f32_e32 vcc, s14, v17
	v_mul_f32_e32 v16, 0xbfd9db23, v15
	v_ldexp_f32 v18, v18, v19
	v_cndmask_b32_e32 v18, 0, v18, vcc
	v_cmp_nlt_f32_e32 vcc, s15, v17
	v_cndmask_b32_e32 v17, v1, v18, vcc
	v_mul_f32_e32 v18, 0x3fb8aa3b, v16
	v_fma_f32 v19, v16, s13, -v18
	v_rndne_f32_e32 v20, v18
	v_fmac_f32_e32 v19, 0x32a5705f, v16
	v_sub_f32_e32 v18, v18, v20
	v_add_f32_e32 v18, v18, v19
	v_exp_f32_e32 v18, v18
	v_cvt_i32_f32_e32 v19, v20
	v_cmp_ngt_f32_e32 vcc, s14, v16
	v_add_f32_e32 v17, 1.0, v17
	v_ldexp_f32 v18, v18, v19
	v_cndmask_b32_e32 v18, 0, v18, vcc
	v_cmp_nlt_f32_e32 vcc, s15, v16
	v_cndmask_b32_e32 v16, v1, v18, vcc
	v_div_scale_f32 v18, s[18:19], v17, v17, v14
	v_add_f32_e32 v16, 1.0, v16
	v_rcp_f32_e32 v19, v18
	v_fma_f32 v20, -v18, v19, 1.0
	v_fmac_f32_e32 v19, v20, v19
	v_div_scale_f32 v20, vcc, v14, v17, v14
	v_mul_f32_e32 v21, v20, v19
	v_fma_f32 v22, -v18, v21, v20
	v_fmac_f32_e32 v21, v22, v19
	v_fma_f32 v18, -v18, v21, v20
	v_div_fmas_f32 v18, v18, v19, v21
	v_div_fixup_f32 v14, v18, v17, v14
	v_div_scale_f32 v17, s[18:19], v16, v16, v15
	v_rcp_f32_e32 v18, v17
	v_fma_f32 v19, -v17, v18, 1.0
	v_fmac_f32_e32 v18, v19, v18
	v_div_scale_f32 v19, vcc, v15, v16, v15
	v_mul_f32_e32 v20, v19, v18
	v_fma_f32 v21, -v17, v20, v19
	v_fmac_f32_e32 v20, v21, v18
	v_fma_f32 v17, -v17, v20, v19
	v_div_fmas_f32 v17, v17, v18, v20
	v_cmp_o_f32_e32 vcc, v14, v14
	v_div_fixup_f32 v15, v17, v16, v15
	v_and_b32_sdwa v17, v14, v13 dst_sel:DWORD dst_unused:UNUSED_PAD src0_sel:WORD_1 src1_sel:DWORD
	v_and_b32_sdwa v16, v15, v13 dst_sel:DWORD dst_unused:UNUSED_PAD src0_sel:WORD_1 src1_sel:DWORD
	v_add3_u32 v17, v14, v17, s16
	v_add3_u32 v16, v15, v16, s16
	v_lshrrev_b32_e32 v17, 16, v17
	v_lshrrev_b32_e32 v16, 16, v16
	v_cndmask_b32_e32 v14, v12, v17, vcc
	v_cmp_o_f32_e32 vcc, v15, v15
	v_cndmask_b32_e32 v15, v12, v16, vcc
	v_add_co_u32_e32 v6, vcc, 4, v6
	v_perm_b32 v14, v15, v14, s17
	v_addc_co_u32_e32 v7, vcc, 0, v7, vcc
	global_store_dword v[8:9], v14, off
	v_add_co_u32_e32 v8, vcc, 4, v8
	v_addc_co_u32_e32 v9, vcc, 0, v9, vcc
	v_add_co_u32_e32 v10, vcc, -2, v10
	v_addc_co_u32_e32 v11, vcc, -1, v11, vcc
	v_cmp_eq_u64_e32 vcc, 0, v[10:11]
	s_or_b64 s[0:1], vcc, s[0:1]
	s_andn2_b64 exec, exec, s[0:1]
	s_cbranch_execnz .LBB26_3
; %bb.4:
	s_or_b64 exec, exec, s[0:1]
	v_cmp_ne_u64_e32 vcc, v[2:3], v[4:5]
	v_add_co_u32_e64 v0, s[0:1], v4, v0
	v_addc_co_u32_e64 v1, s[0:1], 0, v5, s[0:1]
	s_orn2_b64 s[0:1], vcc, exec
.LBB26_5:
	s_or_b64 exec, exec, s[4:5]
	s_and_b64 exec, exec, s[0:1]
	s_cbranch_execz .LBB26_8
; %bb.6:
	v_mov_b32_e32 v3, s7
	v_add_co_u32_e32 v2, vcc, s12, v0
	v_addc_co_u32_e32 v3, vcc, v1, v3, vcc
	v_lshlrev_b64 v[2:3], 1, v[2:3]
	s_lshl_b32 s4, s6, 1
	s_mov_b64 s[0:1], 0
	v_mov_b32_e32 v4, s11
	s_mov_b32 s5, 0x3fb8aa3b
	s_mov_b32 s7, 0xc2ce8ed0
	;; [unrolled: 1-line block ×3, first 2 shown]
	v_mov_b32_e32 v5, 0x7f800000
	s_movk_i32 s12, 0x7fff
	v_mov_b32_e32 v6, 0x7fc0
	v_mov_b32_e32 v7, s9
.LBB26_7:                               ; =>This Inner Loop Header: Depth=1
	v_add_co_u32_e32 v8, vcc, s10, v2
	v_addc_co_u32_e32 v9, vcc, v4, v3, vcc
	global_load_ushort v8, v[8:9], off
	s_waitcnt vmcnt(0)
	v_lshlrev_b32_e32 v10, 16, v8
	v_mul_f32_e32 v8, 0xbfd9db23, v10
	v_mul_f32_e32 v9, 0x3fb8aa3b, v8
	v_fma_f32 v11, v8, s5, -v9
	v_rndne_f32_e32 v12, v9
	v_fmac_f32_e32 v11, 0x32a5705f, v8
	v_sub_f32_e32 v9, v9, v12
	v_add_f32_e32 v9, v9, v11
	v_cvt_i32_f32_e32 v12, v12
	v_exp_f32_e32 v9, v9
	v_cmp_ngt_f32_e32 vcc, s7, v8
	v_ldexp_f32 v9, v9, v12
	v_cndmask_b32_e32 v9, 0, v9, vcc
	v_cmp_nlt_f32_e32 vcc, s11, v8
	v_cndmask_b32_e32 v8, v5, v9, vcc
	v_add_f32_e32 v11, 1.0, v8
	v_div_scale_f32 v8, s[14:15], v11, v11, v10
	v_div_scale_f32 v9, vcc, v10, v11, v10
	v_rcp_f32_e32 v12, v8
	v_fma_f32 v13, -v8, v12, 1.0
	v_fmac_f32_e32 v12, v13, v12
	v_mul_f32_e32 v13, v9, v12
	v_fma_f32 v14, -v8, v13, v9
	v_fmac_f32_e32 v13, v14, v12
	v_fma_f32 v8, -v8, v13, v9
	v_div_fmas_f32 v12, v8, v12, v13
	v_add_co_u32_e32 v8, vcc, s8, v2
	v_addc_co_u32_e32 v9, vcc, v7, v3, vcc
	v_add_co_u32_e32 v0, vcc, s6, v0
	v_addc_co_u32_e32 v1, vcc, 0, v1, vcc
	;; [unrolled: 2-line block ×3, first 2 shown]
	v_cmp_le_i64_e32 vcc, s[2:3], v[0:1]
	s_or_b64 s[0:1], vcc, s[0:1]
	v_div_fixup_f32 v10, v12, v11, v10
	v_bfe_u32 v11, v10, 16, 1
	v_add3_u32 v11, v10, v11, s12
	v_lshrrev_b32_e32 v11, 16, v11
	v_cmp_o_f32_e32 vcc, v10, v10
	v_cndmask_b32_e32 v10, v6, v11, vcc
	global_store_short v[8:9], v10, off
	s_andn2_b64 exec, exec, s[0:1]
	s_cbranch_execnz .LBB26_7
.LBB26_8:
	s_endpgm
	.section	.rodata,"a",@progbits
	.p2align	6, 0x0
	.amdhsa_kernel _ZN4vllm17activation_kernelIN3c108BFloat16ETnPFT_RKS3_EXadL_ZNS_17gelu_quick_kernelIS2_EES3_S5_EEEEvPS3_PS4_i
		.amdhsa_group_segment_fixed_size 0
		.amdhsa_private_segment_fixed_size 0
		.amdhsa_kernarg_size 280
		.amdhsa_user_sgpr_count 6
		.amdhsa_user_sgpr_private_segment_buffer 1
		.amdhsa_user_sgpr_dispatch_ptr 0
		.amdhsa_user_sgpr_queue_ptr 0
		.amdhsa_user_sgpr_kernarg_segment_ptr 1
		.amdhsa_user_sgpr_dispatch_id 0
		.amdhsa_user_sgpr_flat_scratch_init 0
		.amdhsa_user_sgpr_private_segment_size 0
		.amdhsa_uses_dynamic_stack 0
		.amdhsa_system_sgpr_private_segment_wavefront_offset 0
		.amdhsa_system_sgpr_workgroup_id_x 1
		.amdhsa_system_sgpr_workgroup_id_y 0
		.amdhsa_system_sgpr_workgroup_id_z 0
		.amdhsa_system_sgpr_workgroup_info 0
		.amdhsa_system_vgpr_workitem_id 0
		.amdhsa_next_free_vgpr 23
		.amdhsa_next_free_sgpr 20
		.amdhsa_reserve_vcc 1
		.amdhsa_reserve_flat_scratch 0
		.amdhsa_float_round_mode_32 0
		.amdhsa_float_round_mode_16_64 0
		.amdhsa_float_denorm_mode_32 3
		.amdhsa_float_denorm_mode_16_64 3
		.amdhsa_dx10_clamp 1
		.amdhsa_ieee_mode 1
		.amdhsa_fp16_overflow 0
		.amdhsa_exception_fp_ieee_invalid_op 0
		.amdhsa_exception_fp_denorm_src 0
		.amdhsa_exception_fp_ieee_div_zero 0
		.amdhsa_exception_fp_ieee_overflow 0
		.amdhsa_exception_fp_ieee_underflow 0
		.amdhsa_exception_fp_ieee_inexact 0
		.amdhsa_exception_int_div_zero 0
	.end_amdhsa_kernel
	.section	.text._ZN4vllm17activation_kernelIN3c108BFloat16ETnPFT_RKS3_EXadL_ZNS_17gelu_quick_kernelIS2_EES3_S5_EEEEvPS3_PS4_i,"axG",@progbits,_ZN4vllm17activation_kernelIN3c108BFloat16ETnPFT_RKS3_EXadL_ZNS_17gelu_quick_kernelIS2_EES3_S5_EEEEvPS3_PS4_i,comdat
.Lfunc_end26:
	.size	_ZN4vllm17activation_kernelIN3c108BFloat16ETnPFT_RKS3_EXadL_ZNS_17gelu_quick_kernelIS2_EES3_S5_EEEEvPS3_PS4_i, .Lfunc_end26-_ZN4vllm17activation_kernelIN3c108BFloat16ETnPFT_RKS3_EXadL_ZNS_17gelu_quick_kernelIS2_EES3_S5_EEEEvPS3_PS4_i
                                        ; -- End function
	.set _ZN4vllm17activation_kernelIN3c108BFloat16ETnPFT_RKS3_EXadL_ZNS_17gelu_quick_kernelIS2_EES3_S5_EEEEvPS3_PS4_i.num_vgpr, 23
	.set _ZN4vllm17activation_kernelIN3c108BFloat16ETnPFT_RKS3_EXadL_ZNS_17gelu_quick_kernelIS2_EES3_S5_EEEEvPS3_PS4_i.num_agpr, 0
	.set _ZN4vllm17activation_kernelIN3c108BFloat16ETnPFT_RKS3_EXadL_ZNS_17gelu_quick_kernelIS2_EES3_S5_EEEEvPS3_PS4_i.numbered_sgpr, 20
	.set _ZN4vllm17activation_kernelIN3c108BFloat16ETnPFT_RKS3_EXadL_ZNS_17gelu_quick_kernelIS2_EES3_S5_EEEEvPS3_PS4_i.num_named_barrier, 0
	.set _ZN4vllm17activation_kernelIN3c108BFloat16ETnPFT_RKS3_EXadL_ZNS_17gelu_quick_kernelIS2_EES3_S5_EEEEvPS3_PS4_i.private_seg_size, 0
	.set _ZN4vllm17activation_kernelIN3c108BFloat16ETnPFT_RKS3_EXadL_ZNS_17gelu_quick_kernelIS2_EES3_S5_EEEEvPS3_PS4_i.uses_vcc, 1
	.set _ZN4vllm17activation_kernelIN3c108BFloat16ETnPFT_RKS3_EXadL_ZNS_17gelu_quick_kernelIS2_EES3_S5_EEEEvPS3_PS4_i.uses_flat_scratch, 0
	.set _ZN4vllm17activation_kernelIN3c108BFloat16ETnPFT_RKS3_EXadL_ZNS_17gelu_quick_kernelIS2_EES3_S5_EEEEvPS3_PS4_i.has_dyn_sized_stack, 0
	.set _ZN4vllm17activation_kernelIN3c108BFloat16ETnPFT_RKS3_EXadL_ZNS_17gelu_quick_kernelIS2_EES3_S5_EEEEvPS3_PS4_i.has_recursion, 0
	.set _ZN4vllm17activation_kernelIN3c108BFloat16ETnPFT_RKS3_EXadL_ZNS_17gelu_quick_kernelIS2_EES3_S5_EEEEvPS3_PS4_i.has_indirect_call, 0
	.section	.AMDGPU.csdata,"",@progbits
; Kernel info:
; codeLenInByte = 1080
; TotalNumSgprs: 24
; NumVgprs: 23
; ScratchSize: 0
; MemoryBound: 0
; FloatMode: 240
; IeeeMode: 1
; LDSByteSize: 0 bytes/workgroup (compile time only)
; SGPRBlocks: 2
; VGPRBlocks: 5
; NumSGPRsForWavesPerEU: 24
; NumVGPRsForWavesPerEU: 23
; Occupancy: 10
; WaveLimiterHint : 0
; COMPUTE_PGM_RSRC2:SCRATCH_EN: 0
; COMPUTE_PGM_RSRC2:USER_SGPR: 6
; COMPUTE_PGM_RSRC2:TRAP_HANDLER: 0
; COMPUTE_PGM_RSRC2:TGID_X_EN: 1
; COMPUTE_PGM_RSRC2:TGID_Y_EN: 0
; COMPUTE_PGM_RSRC2:TGID_Z_EN: 0
; COMPUTE_PGM_RSRC2:TIDIG_COMP_CNT: 0
	.section	.AMDGPU.gpr_maximums,"",@progbits
	.set amdgpu.max_num_vgpr, 0
	.set amdgpu.max_num_agpr, 0
	.set amdgpu.max_num_sgpr, 0
	.section	.AMDGPU.csdata,"",@progbits
	.type	__hip_cuid_df20e1587cf4648e,@object ; @__hip_cuid_df20e1587cf4648e
	.section	.bss,"aw",@nobits
	.globl	__hip_cuid_df20e1587cf4648e
__hip_cuid_df20e1587cf4648e:
	.byte	0                               ; 0x0
	.size	__hip_cuid_df20e1587cf4648e, 1

	.ident	"AMD clang version 22.0.0git (https://github.com/RadeonOpenCompute/llvm-project roc-7.2.4 26084 f58b06dce1f9c15707c5f808fd002e18c2accf7e)"
	.section	".note.GNU-stack","",@progbits
	.addrsig
	.addrsig_sym __hip_cuid_df20e1587cf4648e
	.amdgpu_metadata
---
amdhsa.kernels:
  - .args:
      - .actual_access:  write_only
        .address_space:  global
        .offset:         0
        .size:           8
        .value_kind:     global_buffer
      - .actual_access:  read_only
        .address_space:  global
        .offset:         8
        .size:           8
        .value_kind:     global_buffer
      - .offset:         16
        .size:           4
        .value_kind:     by_value
      - .offset:         24
        .size:           4
        .value_kind:     hidden_block_count_x
      - .offset:         28
        .size:           4
        .value_kind:     hidden_block_count_y
      - .offset:         32
        .size:           4
        .value_kind:     hidden_block_count_z
      - .offset:         36
        .size:           2
        .value_kind:     hidden_group_size_x
      - .offset:         38
        .size:           2
        .value_kind:     hidden_group_size_y
      - .offset:         40
        .size:           2
        .value_kind:     hidden_group_size_z
      - .offset:         42
        .size:           2
        .value_kind:     hidden_remainder_x
      - .offset:         44
        .size:           2
        .value_kind:     hidden_remainder_y
      - .offset:         46
        .size:           2
        .value_kind:     hidden_remainder_z
      - .offset:         64
        .size:           8
        .value_kind:     hidden_global_offset_x
      - .offset:         72
        .size:           8
        .value_kind:     hidden_global_offset_y
      - .offset:         80
        .size:           8
        .value_kind:     hidden_global_offset_z
      - .offset:         88
        .size:           2
        .value_kind:     hidden_grid_dims
    .group_segment_fixed_size: 0
    .kernarg_segment_align: 8
    .kernarg_segment_size: 280
    .language:       OpenCL C
    .language_version:
      - 2
      - 0
    .max_flat_workgroup_size: 1024
    .name:           _ZN4vllm18act_and_mul_kernelIfTnPFT_RKS1_EXadL_ZNS_11silu_kernelIfEES1_S3_EELb1EEEvPS1_PS2_i
    .private_segment_fixed_size: 0
    .sgpr_count:     18
    .sgpr_spill_count: 0
    .symbol:         _ZN4vllm18act_and_mul_kernelIfTnPFT_RKS1_EXadL_ZNS_11silu_kernelIfEES1_S3_EELb1EEEvPS1_PS2_i.kd
    .uniform_work_group_size: 1
    .uses_dynamic_stack: false
    .vgpr_count:     16
    .vgpr_spill_count: 0
    .wavefront_size: 64
  - .args:
      - .actual_access:  write_only
        .address_space:  global
        .offset:         0
        .size:           8
        .value_kind:     global_buffer
      - .actual_access:  read_only
        .address_space:  global
        .offset:         8
        .size:           8
        .value_kind:     global_buffer
      - .offset:         16
        .size:           4
        .value_kind:     by_value
      - .offset:         24
        .size:           4
        .value_kind:     hidden_block_count_x
      - .offset:         28
        .size:           4
        .value_kind:     hidden_block_count_y
      - .offset:         32
        .size:           4
        .value_kind:     hidden_block_count_z
      - .offset:         36
        .size:           2
        .value_kind:     hidden_group_size_x
      - .offset:         38
        .size:           2
        .value_kind:     hidden_group_size_y
      - .offset:         40
        .size:           2
        .value_kind:     hidden_group_size_z
      - .offset:         42
        .size:           2
        .value_kind:     hidden_remainder_x
      - .offset:         44
        .size:           2
        .value_kind:     hidden_remainder_y
      - .offset:         46
        .size:           2
        .value_kind:     hidden_remainder_z
      - .offset:         64
        .size:           8
        .value_kind:     hidden_global_offset_x
      - .offset:         72
        .size:           8
        .value_kind:     hidden_global_offset_y
      - .offset:         80
        .size:           8
        .value_kind:     hidden_global_offset_z
      - .offset:         88
        .size:           2
        .value_kind:     hidden_grid_dims
    .group_segment_fixed_size: 0
    .kernarg_segment_align: 8
    .kernarg_segment_size: 280
    .language:       OpenCL C
    .language_version:
      - 2
      - 0
    .max_flat_workgroup_size: 1024
    .name:           _ZN4vllm18act_and_mul_kernelIN3c104HalfETnPFT_RKS3_EXadL_ZNS_11silu_kernelIS2_EES3_S5_EELb1EEEvPS3_PS4_i
    .private_segment_fixed_size: 0
    .sgpr_count:     26
    .sgpr_spill_count: 0
    .symbol:         _ZN4vllm18act_and_mul_kernelIN3c104HalfETnPFT_RKS3_EXadL_ZNS_11silu_kernelIS2_EES3_S5_EELb1EEEvPS3_PS4_i.kd
    .uniform_work_group_size: 1
    .uses_dynamic_stack: false
    .vgpr_count:     24
    .vgpr_spill_count: 0
    .wavefront_size: 64
  - .args:
      - .actual_access:  write_only
        .address_space:  global
        .offset:         0
        .size:           8
        .value_kind:     global_buffer
      - .actual_access:  read_only
        .address_space:  global
        .offset:         8
        .size:           8
        .value_kind:     global_buffer
      - .offset:         16
        .size:           4
        .value_kind:     by_value
      - .offset:         24
        .size:           4
        .value_kind:     hidden_block_count_x
      - .offset:         28
        .size:           4
        .value_kind:     hidden_block_count_y
      - .offset:         32
        .size:           4
        .value_kind:     hidden_block_count_z
      - .offset:         36
        .size:           2
        .value_kind:     hidden_group_size_x
      - .offset:         38
        .size:           2
        .value_kind:     hidden_group_size_y
      - .offset:         40
        .size:           2
        .value_kind:     hidden_group_size_z
      - .offset:         42
        .size:           2
        .value_kind:     hidden_remainder_x
      - .offset:         44
        .size:           2
        .value_kind:     hidden_remainder_y
      - .offset:         46
        .size:           2
        .value_kind:     hidden_remainder_z
      - .offset:         64
        .size:           8
        .value_kind:     hidden_global_offset_x
      - .offset:         72
        .size:           8
        .value_kind:     hidden_global_offset_y
      - .offset:         80
        .size:           8
        .value_kind:     hidden_global_offset_z
      - .offset:         88
        .size:           2
        .value_kind:     hidden_grid_dims
    .group_segment_fixed_size: 0
    .kernarg_segment_align: 8
    .kernarg_segment_size: 280
    .language:       OpenCL C
    .language_version:
      - 2
      - 0
    .max_flat_workgroup_size: 1024
    .name:           _ZN4vllm18act_and_mul_kernelIN3c108BFloat16ETnPFT_RKS3_EXadL_ZNS_11silu_kernelIS2_EES3_S5_EELb1EEEvPS3_PS4_i
    .private_segment_fixed_size: 0
    .sgpr_count:     28
    .sgpr_spill_count: 0
    .symbol:         _ZN4vllm18act_and_mul_kernelIN3c108BFloat16ETnPFT_RKS3_EXadL_ZNS_11silu_kernelIS2_EES3_S5_EELb1EEEvPS3_PS4_i.kd
    .uniform_work_group_size: 1
    .uses_dynamic_stack: false
    .vgpr_count:     27
    .vgpr_spill_count: 0
    .wavefront_size: 64
  - .args:
      - .actual_access:  write_only
        .address_space:  global
        .offset:         0
        .size:           8
        .value_kind:     global_buffer
      - .actual_access:  read_only
        .address_space:  global
        .offset:         8
        .size:           8
        .value_kind:     global_buffer
      - .offset:         16
        .size:           4
        .value_kind:     by_value
      - .offset:         24
        .size:           4
        .value_kind:     hidden_block_count_x
      - .offset:         28
        .size:           4
        .value_kind:     hidden_block_count_y
      - .offset:         32
        .size:           4
        .value_kind:     hidden_block_count_z
      - .offset:         36
        .size:           2
        .value_kind:     hidden_group_size_x
      - .offset:         38
        .size:           2
        .value_kind:     hidden_group_size_y
      - .offset:         40
        .size:           2
        .value_kind:     hidden_group_size_z
      - .offset:         42
        .size:           2
        .value_kind:     hidden_remainder_x
      - .offset:         44
        .size:           2
        .value_kind:     hidden_remainder_y
      - .offset:         46
        .size:           2
        .value_kind:     hidden_remainder_z
      - .offset:         64
        .size:           8
        .value_kind:     hidden_global_offset_x
      - .offset:         72
        .size:           8
        .value_kind:     hidden_global_offset_y
      - .offset:         80
        .size:           8
        .value_kind:     hidden_global_offset_z
      - .offset:         88
        .size:           2
        .value_kind:     hidden_grid_dims
    .group_segment_fixed_size: 0
    .kernarg_segment_align: 8
    .kernarg_segment_size: 280
    .language:       OpenCL C
    .language_version:
      - 2
      - 0
    .max_flat_workgroup_size: 1024
    .name:           _ZN4vllm18act_and_mul_kernelIfTnPFT_RKS1_EXadL_ZNS_11silu_kernelIfEES1_S3_EELb0EEEvPS1_PS2_i
    .private_segment_fixed_size: 0
    .sgpr_count:     18
    .sgpr_spill_count: 0
    .symbol:         _ZN4vllm18act_and_mul_kernelIfTnPFT_RKS1_EXadL_ZNS_11silu_kernelIfEES1_S3_EELb0EEEvPS1_PS2_i.kd
    .uniform_work_group_size: 1
    .uses_dynamic_stack: false
    .vgpr_count:     16
    .vgpr_spill_count: 0
    .wavefront_size: 64
  - .args:
      - .actual_access:  write_only
        .address_space:  global
        .offset:         0
        .size:           8
        .value_kind:     global_buffer
      - .actual_access:  read_only
        .address_space:  global
        .offset:         8
        .size:           8
        .value_kind:     global_buffer
      - .offset:         16
        .size:           4
        .value_kind:     by_value
      - .offset:         24
        .size:           4
        .value_kind:     hidden_block_count_x
      - .offset:         28
        .size:           4
        .value_kind:     hidden_block_count_y
      - .offset:         32
        .size:           4
        .value_kind:     hidden_block_count_z
      - .offset:         36
        .size:           2
        .value_kind:     hidden_group_size_x
      - .offset:         38
        .size:           2
        .value_kind:     hidden_group_size_y
      - .offset:         40
        .size:           2
        .value_kind:     hidden_group_size_z
      - .offset:         42
        .size:           2
        .value_kind:     hidden_remainder_x
      - .offset:         44
        .size:           2
        .value_kind:     hidden_remainder_y
      - .offset:         46
        .size:           2
        .value_kind:     hidden_remainder_z
      - .offset:         64
        .size:           8
        .value_kind:     hidden_global_offset_x
      - .offset:         72
        .size:           8
        .value_kind:     hidden_global_offset_y
      - .offset:         80
        .size:           8
        .value_kind:     hidden_global_offset_z
      - .offset:         88
        .size:           2
        .value_kind:     hidden_grid_dims
    .group_segment_fixed_size: 0
    .kernarg_segment_align: 8
    .kernarg_segment_size: 280
    .language:       OpenCL C
    .language_version:
      - 2
      - 0
    .max_flat_workgroup_size: 1024
    .name:           _ZN4vllm18act_and_mul_kernelIN3c104HalfETnPFT_RKS3_EXadL_ZNS_11silu_kernelIS2_EES3_S5_EELb0EEEvPS3_PS4_i
    .private_segment_fixed_size: 0
    .sgpr_count:     26
    .sgpr_spill_count: 0
    .symbol:         _ZN4vllm18act_and_mul_kernelIN3c104HalfETnPFT_RKS3_EXadL_ZNS_11silu_kernelIS2_EES3_S5_EELb0EEEvPS3_PS4_i.kd
    .uniform_work_group_size: 1
    .uses_dynamic_stack: false
    .vgpr_count:     24
    .vgpr_spill_count: 0
    .wavefront_size: 64
  - .args:
      - .actual_access:  write_only
        .address_space:  global
        .offset:         0
        .size:           8
        .value_kind:     global_buffer
      - .actual_access:  read_only
        .address_space:  global
        .offset:         8
        .size:           8
        .value_kind:     global_buffer
      - .offset:         16
        .size:           4
        .value_kind:     by_value
      - .offset:         24
        .size:           4
        .value_kind:     hidden_block_count_x
      - .offset:         28
        .size:           4
        .value_kind:     hidden_block_count_y
      - .offset:         32
        .size:           4
        .value_kind:     hidden_block_count_z
      - .offset:         36
        .size:           2
        .value_kind:     hidden_group_size_x
      - .offset:         38
        .size:           2
        .value_kind:     hidden_group_size_y
      - .offset:         40
        .size:           2
        .value_kind:     hidden_group_size_z
      - .offset:         42
        .size:           2
        .value_kind:     hidden_remainder_x
      - .offset:         44
        .size:           2
        .value_kind:     hidden_remainder_y
      - .offset:         46
        .size:           2
        .value_kind:     hidden_remainder_z
      - .offset:         64
        .size:           8
        .value_kind:     hidden_global_offset_x
      - .offset:         72
        .size:           8
        .value_kind:     hidden_global_offset_y
      - .offset:         80
        .size:           8
        .value_kind:     hidden_global_offset_z
      - .offset:         88
        .size:           2
        .value_kind:     hidden_grid_dims
    .group_segment_fixed_size: 0
    .kernarg_segment_align: 8
    .kernarg_segment_size: 280
    .language:       OpenCL C
    .language_version:
      - 2
      - 0
    .max_flat_workgroup_size: 1024
    .name:           _ZN4vllm18act_and_mul_kernelIN3c108BFloat16ETnPFT_RKS3_EXadL_ZNS_11silu_kernelIS2_EES3_S5_EELb0EEEvPS3_PS4_i
    .private_segment_fixed_size: 0
    .sgpr_count:     28
    .sgpr_spill_count: 0
    .symbol:         _ZN4vllm18act_and_mul_kernelIN3c108BFloat16ETnPFT_RKS3_EXadL_ZNS_11silu_kernelIS2_EES3_S5_EELb0EEEvPS3_PS4_i.kd
    .uniform_work_group_size: 1
    .uses_dynamic_stack: false
    .vgpr_count:     27
    .vgpr_spill_count: 0
    .wavefront_size: 64
  - .args:
      - .actual_access:  write_only
        .address_space:  global
        .offset:         0
        .size:           8
        .value_kind:     global_buffer
      - .actual_access:  read_only
        .address_space:  global
        .offset:         8
        .size:           8
        .value_kind:     global_buffer
      - .offset:         16
        .size:           4
        .value_kind:     by_value
      - .offset:         24
        .size:           4
        .value_kind:     hidden_block_count_x
      - .offset:         28
        .size:           4
        .value_kind:     hidden_block_count_y
      - .offset:         32
        .size:           4
        .value_kind:     hidden_block_count_z
      - .offset:         36
        .size:           2
        .value_kind:     hidden_group_size_x
      - .offset:         38
        .size:           2
        .value_kind:     hidden_group_size_y
      - .offset:         40
        .size:           2
        .value_kind:     hidden_group_size_z
      - .offset:         42
        .size:           2
        .value_kind:     hidden_remainder_x
      - .offset:         44
        .size:           2
        .value_kind:     hidden_remainder_y
      - .offset:         46
        .size:           2
        .value_kind:     hidden_remainder_z
      - .offset:         64
        .size:           8
        .value_kind:     hidden_global_offset_x
      - .offset:         72
        .size:           8
        .value_kind:     hidden_global_offset_y
      - .offset:         80
        .size:           8
        .value_kind:     hidden_global_offset_z
      - .offset:         88
        .size:           2
        .value_kind:     hidden_grid_dims
    .group_segment_fixed_size: 0
    .kernarg_segment_align: 8
    .kernarg_segment_size: 280
    .language:       OpenCL C
    .language_version:
      - 2
      - 0
    .max_flat_workgroup_size: 1024
    .name:           _ZN4vllm18act_and_mul_kernelIfTnPFT_RKS1_EXadL_ZNS_11gelu_kernelIfEES1_S3_EELb1EEEvPS1_PS2_i
    .private_segment_fixed_size: 0
    .sgpr_count:     28
    .sgpr_spill_count: 0
    .symbol:         _ZN4vllm18act_and_mul_kernelIfTnPFT_RKS1_EXadL_ZNS_11gelu_kernelIfEES1_S3_EELb1EEEvPS1_PS2_i.kd
    .uniform_work_group_size: 1
    .uses_dynamic_stack: false
    .vgpr_count:     20
    .vgpr_spill_count: 0
    .wavefront_size: 64
  - .args:
      - .actual_access:  write_only
        .address_space:  global
        .offset:         0
        .size:           8
        .value_kind:     global_buffer
      - .actual_access:  read_only
        .address_space:  global
        .offset:         8
        .size:           8
        .value_kind:     global_buffer
      - .offset:         16
        .size:           4
        .value_kind:     by_value
      - .offset:         24
        .size:           4
        .value_kind:     hidden_block_count_x
      - .offset:         28
        .size:           4
        .value_kind:     hidden_block_count_y
      - .offset:         32
        .size:           4
        .value_kind:     hidden_block_count_z
      - .offset:         36
        .size:           2
        .value_kind:     hidden_group_size_x
      - .offset:         38
        .size:           2
        .value_kind:     hidden_group_size_y
      - .offset:         40
        .size:           2
        .value_kind:     hidden_group_size_z
      - .offset:         42
        .size:           2
        .value_kind:     hidden_remainder_x
      - .offset:         44
        .size:           2
        .value_kind:     hidden_remainder_y
      - .offset:         46
        .size:           2
        .value_kind:     hidden_remainder_z
      - .offset:         64
        .size:           8
        .value_kind:     hidden_global_offset_x
      - .offset:         72
        .size:           8
        .value_kind:     hidden_global_offset_y
      - .offset:         80
        .size:           8
        .value_kind:     hidden_global_offset_z
      - .offset:         88
        .size:           2
        .value_kind:     hidden_grid_dims
    .group_segment_fixed_size: 0
    .kernarg_segment_align: 8
    .kernarg_segment_size: 280
    .language:       OpenCL C
    .language_version:
      - 2
      - 0
    .max_flat_workgroup_size: 1024
    .name:           _ZN4vllm18act_and_mul_kernelIN3c104HalfETnPFT_RKS3_EXadL_ZNS_11gelu_kernelIS2_EES3_S5_EELb1EEEvPS3_PS4_i
    .private_segment_fixed_size: 0
    .sgpr_count:     33
    .sgpr_spill_count: 0
    .symbol:         _ZN4vllm18act_and_mul_kernelIN3c104HalfETnPFT_RKS3_EXadL_ZNS_11gelu_kernelIS2_EES3_S5_EELb1EEEvPS3_PS4_i.kd
    .uniform_work_group_size: 1
    .uses_dynamic_stack: false
    .vgpr_count:     30
    .vgpr_spill_count: 0
    .wavefront_size: 64
  - .args:
      - .actual_access:  write_only
        .address_space:  global
        .offset:         0
        .size:           8
        .value_kind:     global_buffer
      - .actual_access:  read_only
        .address_space:  global
        .offset:         8
        .size:           8
        .value_kind:     global_buffer
      - .offset:         16
        .size:           4
        .value_kind:     by_value
      - .offset:         24
        .size:           4
        .value_kind:     hidden_block_count_x
      - .offset:         28
        .size:           4
        .value_kind:     hidden_block_count_y
      - .offset:         32
        .size:           4
        .value_kind:     hidden_block_count_z
      - .offset:         36
        .size:           2
        .value_kind:     hidden_group_size_x
      - .offset:         38
        .size:           2
        .value_kind:     hidden_group_size_y
      - .offset:         40
        .size:           2
        .value_kind:     hidden_group_size_z
      - .offset:         42
        .size:           2
        .value_kind:     hidden_remainder_x
      - .offset:         44
        .size:           2
        .value_kind:     hidden_remainder_y
      - .offset:         46
        .size:           2
        .value_kind:     hidden_remainder_z
      - .offset:         64
        .size:           8
        .value_kind:     hidden_global_offset_x
      - .offset:         72
        .size:           8
        .value_kind:     hidden_global_offset_y
      - .offset:         80
        .size:           8
        .value_kind:     hidden_global_offset_z
      - .offset:         88
        .size:           2
        .value_kind:     hidden_grid_dims
    .group_segment_fixed_size: 0
    .kernarg_segment_align: 8
    .kernarg_segment_size: 280
    .language:       OpenCL C
    .language_version:
      - 2
      - 0
    .max_flat_workgroup_size: 1024
    .name:           _ZN4vllm18act_and_mul_kernelIN3c108BFloat16ETnPFT_RKS3_EXadL_ZNS_11gelu_kernelIS2_EES3_S5_EELb1EEEvPS3_PS4_i
    .private_segment_fixed_size: 0
    .sgpr_count:     40
    .sgpr_spill_count: 0
    .symbol:         _ZN4vllm18act_and_mul_kernelIN3c108BFloat16ETnPFT_RKS3_EXadL_ZNS_11gelu_kernelIS2_EES3_S5_EELb1EEEvPS3_PS4_i.kd
    .uniform_work_group_size: 1
    .uses_dynamic_stack: false
    .vgpr_count:     33
    .vgpr_spill_count: 0
    .wavefront_size: 64
  - .args:
      - .actual_access:  write_only
        .address_space:  global
        .offset:         0
        .size:           8
        .value_kind:     global_buffer
      - .actual_access:  read_only
        .address_space:  global
        .offset:         8
        .size:           8
        .value_kind:     global_buffer
      - .offset:         16
        .size:           4
        .value_kind:     by_value
      - .offset:         24
        .size:           4
        .value_kind:     hidden_block_count_x
      - .offset:         28
        .size:           4
        .value_kind:     hidden_block_count_y
      - .offset:         32
        .size:           4
        .value_kind:     hidden_block_count_z
      - .offset:         36
        .size:           2
        .value_kind:     hidden_group_size_x
      - .offset:         38
        .size:           2
        .value_kind:     hidden_group_size_y
      - .offset:         40
        .size:           2
        .value_kind:     hidden_group_size_z
      - .offset:         42
        .size:           2
        .value_kind:     hidden_remainder_x
      - .offset:         44
        .size:           2
        .value_kind:     hidden_remainder_y
      - .offset:         46
        .size:           2
        .value_kind:     hidden_remainder_z
      - .offset:         64
        .size:           8
        .value_kind:     hidden_global_offset_x
      - .offset:         72
        .size:           8
        .value_kind:     hidden_global_offset_y
      - .offset:         80
        .size:           8
        .value_kind:     hidden_global_offset_z
      - .offset:         88
        .size:           2
        .value_kind:     hidden_grid_dims
    .group_segment_fixed_size: 0
    .kernarg_segment_align: 8
    .kernarg_segment_size: 280
    .language:       OpenCL C
    .language_version:
      - 2
      - 0
    .max_flat_workgroup_size: 1024
    .name:           _ZN4vllm18act_and_mul_kernelIfTnPFT_RKS1_EXadL_ZNS_16gelu_tanh_kernelIfEES1_S3_EELb1EEEvPS1_PS2_i
    .private_segment_fixed_size: 0
    .sgpr_count:     22
    .sgpr_spill_count: 0
    .symbol:         _ZN4vllm18act_and_mul_kernelIfTnPFT_RKS1_EXadL_ZNS_16gelu_tanh_kernelIfEES1_S3_EELb1EEEvPS1_PS2_i.kd
    .uniform_work_group_size: 1
    .uses_dynamic_stack: false
    .vgpr_count:     18
    .vgpr_spill_count: 0
    .wavefront_size: 64
  - .args:
      - .actual_access:  write_only
        .address_space:  global
        .offset:         0
        .size:           8
        .value_kind:     global_buffer
      - .actual_access:  read_only
        .address_space:  global
        .offset:         8
        .size:           8
        .value_kind:     global_buffer
      - .offset:         16
        .size:           4
        .value_kind:     by_value
      - .offset:         24
        .size:           4
        .value_kind:     hidden_block_count_x
      - .offset:         28
        .size:           4
        .value_kind:     hidden_block_count_y
      - .offset:         32
        .size:           4
        .value_kind:     hidden_block_count_z
      - .offset:         36
        .size:           2
        .value_kind:     hidden_group_size_x
      - .offset:         38
        .size:           2
        .value_kind:     hidden_group_size_y
      - .offset:         40
        .size:           2
        .value_kind:     hidden_group_size_z
      - .offset:         42
        .size:           2
        .value_kind:     hidden_remainder_x
      - .offset:         44
        .size:           2
        .value_kind:     hidden_remainder_y
      - .offset:         46
        .size:           2
        .value_kind:     hidden_remainder_z
      - .offset:         64
        .size:           8
        .value_kind:     hidden_global_offset_x
      - .offset:         72
        .size:           8
        .value_kind:     hidden_global_offset_y
      - .offset:         80
        .size:           8
        .value_kind:     hidden_global_offset_z
      - .offset:         88
        .size:           2
        .value_kind:     hidden_grid_dims
    .group_segment_fixed_size: 0
    .kernarg_segment_align: 8
    .kernarg_segment_size: 280
    .language:       OpenCL C
    .language_version:
      - 2
      - 0
    .max_flat_workgroup_size: 1024
    .name:           _ZN4vllm18act_and_mul_kernelIN3c104HalfETnPFT_RKS3_EXadL_ZNS_16gelu_tanh_kernelIS2_EES3_S5_EELb1EEEvPS3_PS4_i
    .private_segment_fixed_size: 0
    .sgpr_count:     24
    .sgpr_spill_count: 0
    .symbol:         _ZN4vllm18act_and_mul_kernelIN3c104HalfETnPFT_RKS3_EXadL_ZNS_16gelu_tanh_kernelIS2_EES3_S5_EELb1EEEvPS3_PS4_i.kd
    .uniform_work_group_size: 1
    .uses_dynamic_stack: false
    .vgpr_count:     18
    .vgpr_spill_count: 0
    .wavefront_size: 64
  - .args:
      - .actual_access:  write_only
        .address_space:  global
        .offset:         0
        .size:           8
        .value_kind:     global_buffer
      - .actual_access:  read_only
        .address_space:  global
        .offset:         8
        .size:           8
        .value_kind:     global_buffer
      - .offset:         16
        .size:           4
        .value_kind:     by_value
      - .offset:         24
        .size:           4
        .value_kind:     hidden_block_count_x
      - .offset:         28
        .size:           4
        .value_kind:     hidden_block_count_y
      - .offset:         32
        .size:           4
        .value_kind:     hidden_block_count_z
      - .offset:         36
        .size:           2
        .value_kind:     hidden_group_size_x
      - .offset:         38
        .size:           2
        .value_kind:     hidden_group_size_y
      - .offset:         40
        .size:           2
        .value_kind:     hidden_group_size_z
      - .offset:         42
        .size:           2
        .value_kind:     hidden_remainder_x
      - .offset:         44
        .size:           2
        .value_kind:     hidden_remainder_y
      - .offset:         46
        .size:           2
        .value_kind:     hidden_remainder_z
      - .offset:         64
        .size:           8
        .value_kind:     hidden_global_offset_x
      - .offset:         72
        .size:           8
        .value_kind:     hidden_global_offset_y
      - .offset:         80
        .size:           8
        .value_kind:     hidden_global_offset_z
      - .offset:         88
        .size:           2
        .value_kind:     hidden_grid_dims
    .group_segment_fixed_size: 0
    .kernarg_segment_align: 8
    .kernarg_segment_size: 280
    .language:       OpenCL C
    .language_version:
      - 2
      - 0
    .max_flat_workgroup_size: 1024
    .name:           _ZN4vllm18act_and_mul_kernelIN3c108BFloat16ETnPFT_RKS3_EXadL_ZNS_16gelu_tanh_kernelIS2_EES3_S5_EELb1EEEvPS3_PS4_i
    .private_segment_fixed_size: 0
    .sgpr_count:     24
    .sgpr_spill_count: 0
    .symbol:         _ZN4vllm18act_and_mul_kernelIN3c108BFloat16ETnPFT_RKS3_EXadL_ZNS_16gelu_tanh_kernelIS2_EES3_S5_EELb1EEEvPS3_PS4_i.kd
    .uniform_work_group_size: 1
    .uses_dynamic_stack: false
    .vgpr_count:     20
    .vgpr_spill_count: 0
    .wavefront_size: 64
  - .args:
      - .actual_access:  write_only
        .address_space:  global
        .offset:         0
        .size:           8
        .value_kind:     global_buffer
      - .actual_access:  read_only
        .address_space:  global
        .offset:         8
        .size:           8
        .value_kind:     global_buffer
      - .offset:         16
        .size:           4
        .value_kind:     by_value
      - .offset:         20
        .size:           4
        .value_kind:     by_value
      - .offset:         24
        .size:           4
        .value_kind:     hidden_block_count_x
      - .offset:         28
        .size:           4
        .value_kind:     hidden_block_count_y
      - .offset:         32
        .size:           4
        .value_kind:     hidden_block_count_z
      - .offset:         36
        .size:           2
        .value_kind:     hidden_group_size_x
      - .offset:         38
        .size:           2
        .value_kind:     hidden_group_size_y
      - .offset:         40
        .size:           2
        .value_kind:     hidden_group_size_z
      - .offset:         42
        .size:           2
        .value_kind:     hidden_remainder_x
      - .offset:         44
        .size:           2
        .value_kind:     hidden_remainder_y
      - .offset:         46
        .size:           2
        .value_kind:     hidden_remainder_z
      - .offset:         64
        .size:           8
        .value_kind:     hidden_global_offset_x
      - .offset:         72
        .size:           8
        .value_kind:     hidden_global_offset_y
      - .offset:         80
        .size:           8
        .value_kind:     hidden_global_offset_z
      - .offset:         88
        .size:           2
        .value_kind:     hidden_grid_dims
    .group_segment_fixed_size: 0
    .kernarg_segment_align: 8
    .kernarg_segment_size: 280
    .language:       OpenCL C
    .language_version:
      - 2
      - 0
    .max_flat_workgroup_size: 1024
    .name:           _ZN4vllm29act_and_mul_kernel_with_paramIfTnPFT_RKS1_fEXadL_ZNS_14fatrelu_kernelIfEES1_S3_fEEEEvPS1_PS2_if
    .private_segment_fixed_size: 0
    .sgpr_count:     19
    .sgpr_spill_count: 0
    .symbol:         _ZN4vllm29act_and_mul_kernel_with_paramIfTnPFT_RKS1_fEXadL_ZNS_14fatrelu_kernelIfEES1_S3_fEEEEvPS1_PS2_if.kd
    .uniform_work_group_size: 1
    .uses_dynamic_stack: false
    .vgpr_count:     13
    .vgpr_spill_count: 0
    .wavefront_size: 64
  - .args:
      - .actual_access:  write_only
        .address_space:  global
        .offset:         0
        .size:           8
        .value_kind:     global_buffer
      - .actual_access:  read_only
        .address_space:  global
        .offset:         8
        .size:           8
        .value_kind:     global_buffer
      - .offset:         16
        .size:           4
        .value_kind:     by_value
      - .offset:         20
        .size:           4
        .value_kind:     by_value
      - .offset:         24
        .size:           4
        .value_kind:     hidden_block_count_x
      - .offset:         28
        .size:           4
        .value_kind:     hidden_block_count_y
      - .offset:         32
        .size:           4
        .value_kind:     hidden_block_count_z
      - .offset:         36
        .size:           2
        .value_kind:     hidden_group_size_x
      - .offset:         38
        .size:           2
        .value_kind:     hidden_group_size_y
      - .offset:         40
        .size:           2
        .value_kind:     hidden_group_size_z
      - .offset:         42
        .size:           2
        .value_kind:     hidden_remainder_x
      - .offset:         44
        .size:           2
        .value_kind:     hidden_remainder_y
      - .offset:         46
        .size:           2
        .value_kind:     hidden_remainder_z
      - .offset:         64
        .size:           8
        .value_kind:     hidden_global_offset_x
      - .offset:         72
        .size:           8
        .value_kind:     hidden_global_offset_y
      - .offset:         80
        .size:           8
        .value_kind:     hidden_global_offset_z
      - .offset:         88
        .size:           2
        .value_kind:     hidden_grid_dims
    .group_segment_fixed_size: 0
    .kernarg_segment_align: 8
    .kernarg_segment_size: 280
    .language:       OpenCL C
    .language_version:
      - 2
      - 0
    .max_flat_workgroup_size: 1024
    .name:           _ZN4vllm29act_and_mul_kernel_with_paramIN3c104HalfETnPFT_RKS3_fEXadL_ZNS_14fatrelu_kernelIS2_EES3_S5_fEEEEvPS3_PS4_if
    .private_segment_fixed_size: 0
    .sgpr_count:     26
    .sgpr_spill_count: 0
    .symbol:         _ZN4vllm29act_and_mul_kernel_with_paramIN3c104HalfETnPFT_RKS3_fEXadL_ZNS_14fatrelu_kernelIS2_EES3_S5_fEEEEvPS3_PS4_if.kd
    .uniform_work_group_size: 1
    .uses_dynamic_stack: false
    .vgpr_count:     18
    .vgpr_spill_count: 0
    .wavefront_size: 64
  - .args:
      - .actual_access:  write_only
        .address_space:  global
        .offset:         0
        .size:           8
        .value_kind:     global_buffer
      - .actual_access:  read_only
        .address_space:  global
        .offset:         8
        .size:           8
        .value_kind:     global_buffer
      - .offset:         16
        .size:           4
        .value_kind:     by_value
      - .offset:         20
        .size:           4
        .value_kind:     by_value
      - .offset:         24
        .size:           4
        .value_kind:     hidden_block_count_x
      - .offset:         28
        .size:           4
        .value_kind:     hidden_block_count_y
      - .offset:         32
        .size:           4
        .value_kind:     hidden_block_count_z
      - .offset:         36
        .size:           2
        .value_kind:     hidden_group_size_x
      - .offset:         38
        .size:           2
        .value_kind:     hidden_group_size_y
      - .offset:         40
        .size:           2
        .value_kind:     hidden_group_size_z
      - .offset:         42
        .size:           2
        .value_kind:     hidden_remainder_x
      - .offset:         44
        .size:           2
        .value_kind:     hidden_remainder_y
      - .offset:         46
        .size:           2
        .value_kind:     hidden_remainder_z
      - .offset:         64
        .size:           8
        .value_kind:     hidden_global_offset_x
      - .offset:         72
        .size:           8
        .value_kind:     hidden_global_offset_y
      - .offset:         80
        .size:           8
        .value_kind:     hidden_global_offset_z
      - .offset:         88
        .size:           2
        .value_kind:     hidden_grid_dims
    .group_segment_fixed_size: 0
    .kernarg_segment_align: 8
    .kernarg_segment_size: 280
    .language:       OpenCL C
    .language_version:
      - 2
      - 0
    .max_flat_workgroup_size: 1024
    .name:           _ZN4vllm29act_and_mul_kernel_with_paramIN3c108BFloat16ETnPFT_RKS3_fEXadL_ZNS_14fatrelu_kernelIS2_EES3_S5_fEEEEvPS3_PS4_if
    .private_segment_fixed_size: 0
    .sgpr_count:     26
    .sgpr_spill_count: 0
    .symbol:         _ZN4vllm29act_and_mul_kernel_with_paramIN3c108BFloat16ETnPFT_RKS3_fEXadL_ZNS_14fatrelu_kernelIS2_EES3_S5_fEEEEvPS3_PS4_if.kd
    .uniform_work_group_size: 1
    .uses_dynamic_stack: false
    .vgpr_count:     22
    .vgpr_spill_count: 0
    .wavefront_size: 64
  - .args:
      - .actual_access:  write_only
        .address_space:  global
        .offset:         0
        .size:           8
        .value_kind:     global_buffer
      - .actual_access:  read_only
        .address_space:  global
        .offset:         8
        .size:           8
        .value_kind:     global_buffer
      - .offset:         16
        .size:           4
        .value_kind:     by_value
      - .offset:         20
        .size:           4
        .value_kind:     by_value
      - .offset:         24
        .size:           4
        .value_kind:     by_value
      - .offset:         32
        .size:           4
        .value_kind:     hidden_block_count_x
      - .offset:         36
        .size:           4
        .value_kind:     hidden_block_count_y
      - .offset:         40
        .size:           4
        .value_kind:     hidden_block_count_z
      - .offset:         44
        .size:           2
        .value_kind:     hidden_group_size_x
      - .offset:         46
        .size:           2
        .value_kind:     hidden_group_size_y
      - .offset:         48
        .size:           2
        .value_kind:     hidden_group_size_z
      - .offset:         50
        .size:           2
        .value_kind:     hidden_remainder_x
      - .offset:         52
        .size:           2
        .value_kind:     hidden_remainder_y
      - .offset:         54
        .size:           2
        .value_kind:     hidden_remainder_z
      - .offset:         72
        .size:           8
        .value_kind:     hidden_global_offset_x
      - .offset:         80
        .size:           8
        .value_kind:     hidden_global_offset_y
      - .offset:         88
        .size:           8
        .value_kind:     hidden_global_offset_z
      - .offset:         96
        .size:           2
        .value_kind:     hidden_grid_dims
    .group_segment_fixed_size: 0
    .kernarg_segment_align: 8
    .kernarg_segment_size: 288
    .language:       OpenCL C
    .language_version:
      - 2
      - 0
    .max_flat_workgroup_size: 1024
    .name:           _ZN4vllm24swigluoai_and_mul_kernelIfTnPFT_RKS1_S3_ffEXadL_ZNS_17swigluoai_and_mulIfEES1_S3_S3_ffEEEEvPS1_PS2_iff
    .private_segment_fixed_size: 0
    .sgpr_count:     20
    .sgpr_spill_count: 0
    .symbol:         _ZN4vllm24swigluoai_and_mul_kernelIfTnPFT_RKS1_S3_ffEXadL_ZNS_17swigluoai_and_mulIfEES1_S3_S3_ffEEEEvPS1_PS2_iff.kd
    .uniform_work_group_size: 1
    .uses_dynamic_stack: false
    .vgpr_count:     16
    .vgpr_spill_count: 0
    .wavefront_size: 64
  - .args:
      - .actual_access:  write_only
        .address_space:  global
        .offset:         0
        .size:           8
        .value_kind:     global_buffer
      - .actual_access:  read_only
        .address_space:  global
        .offset:         8
        .size:           8
        .value_kind:     global_buffer
      - .offset:         16
        .size:           4
        .value_kind:     by_value
      - .offset:         20
        .size:           4
        .value_kind:     by_value
      - .offset:         24
        .size:           4
        .value_kind:     by_value
      - .offset:         32
        .size:           4
        .value_kind:     hidden_block_count_x
      - .offset:         36
        .size:           4
        .value_kind:     hidden_block_count_y
      - .offset:         40
        .size:           4
        .value_kind:     hidden_block_count_z
      - .offset:         44
        .size:           2
        .value_kind:     hidden_group_size_x
      - .offset:         46
        .size:           2
        .value_kind:     hidden_group_size_y
      - .offset:         48
        .size:           2
        .value_kind:     hidden_group_size_z
      - .offset:         50
        .size:           2
        .value_kind:     hidden_remainder_x
      - .offset:         52
        .size:           2
        .value_kind:     hidden_remainder_y
      - .offset:         54
        .size:           2
        .value_kind:     hidden_remainder_z
      - .offset:         72
        .size:           8
        .value_kind:     hidden_global_offset_x
      - .offset:         80
        .size:           8
        .value_kind:     hidden_global_offset_y
      - .offset:         88
        .size:           8
        .value_kind:     hidden_global_offset_z
      - .offset:         96
        .size:           2
        .value_kind:     hidden_grid_dims
    .group_segment_fixed_size: 0
    .kernarg_segment_align: 8
    .kernarg_segment_size: 288
    .language:       OpenCL C
    .language_version:
      - 2
      - 0
    .max_flat_workgroup_size: 1024
    .name:           _ZN4vllm24swigluoai_and_mul_kernelIN3c104HalfETnPFT_RKS3_S5_ffEXadL_ZNS_17swigluoai_and_mulIS2_EES3_S5_S5_ffEEEEvPS3_PS4_iff
    .private_segment_fixed_size: 0
    .sgpr_count:     33
    .sgpr_spill_count: 0
    .symbol:         _ZN4vllm24swigluoai_and_mul_kernelIN3c104HalfETnPFT_RKS3_S5_ffEXadL_ZNS_17swigluoai_and_mulIS2_EES3_S5_S5_ffEEEEvPS3_PS4_iff.kd
    .uniform_work_group_size: 1
    .uses_dynamic_stack: false
    .vgpr_count:     31
    .vgpr_spill_count: 0
    .wavefront_size: 64
  - .args:
      - .actual_access:  write_only
        .address_space:  global
        .offset:         0
        .size:           8
        .value_kind:     global_buffer
      - .actual_access:  read_only
        .address_space:  global
        .offset:         8
        .size:           8
        .value_kind:     global_buffer
      - .offset:         16
        .size:           4
        .value_kind:     by_value
      - .offset:         20
        .size:           4
        .value_kind:     by_value
      - .offset:         24
        .size:           4
        .value_kind:     by_value
      - .offset:         32
        .size:           4
        .value_kind:     hidden_block_count_x
      - .offset:         36
        .size:           4
        .value_kind:     hidden_block_count_y
      - .offset:         40
        .size:           4
        .value_kind:     hidden_block_count_z
      - .offset:         44
        .size:           2
        .value_kind:     hidden_group_size_x
      - .offset:         46
        .size:           2
        .value_kind:     hidden_group_size_y
      - .offset:         48
        .size:           2
        .value_kind:     hidden_group_size_z
      - .offset:         50
        .size:           2
        .value_kind:     hidden_remainder_x
      - .offset:         52
        .size:           2
        .value_kind:     hidden_remainder_y
      - .offset:         54
        .size:           2
        .value_kind:     hidden_remainder_z
      - .offset:         72
        .size:           8
        .value_kind:     hidden_global_offset_x
      - .offset:         80
        .size:           8
        .value_kind:     hidden_global_offset_y
      - .offset:         88
        .size:           8
        .value_kind:     hidden_global_offset_z
      - .offset:         96
        .size:           2
        .value_kind:     hidden_grid_dims
    .group_segment_fixed_size: 0
    .kernarg_segment_align: 8
    .kernarg_segment_size: 288
    .language:       OpenCL C
    .language_version:
      - 2
      - 0
    .max_flat_workgroup_size: 1024
    .name:           _ZN4vllm24swigluoai_and_mul_kernelIN3c108BFloat16ETnPFT_RKS3_S5_ffEXadL_ZNS_17swigluoai_and_mulIS2_EES3_S5_S5_ffEEEEvPS3_PS4_iff
    .private_segment_fixed_size: 0
    .sgpr_count:     40
    .sgpr_spill_count: 0
    .symbol:         _ZN4vllm24swigluoai_and_mul_kernelIN3c108BFloat16ETnPFT_RKS3_S5_ffEXadL_ZNS_17swigluoai_and_mulIS2_EES3_S5_S5_ffEEEEvPS3_PS4_iff.kd
    .uniform_work_group_size: 1
    .uses_dynamic_stack: false
    .vgpr_count:     32
    .vgpr_spill_count: 0
    .wavefront_size: 64
  - .args:
      - .actual_access:  write_only
        .address_space:  global
        .offset:         0
        .size:           8
        .value_kind:     global_buffer
      - .actual_access:  read_only
        .address_space:  global
        .offset:         8
        .size:           8
        .value_kind:     global_buffer
      - .offset:         16
        .size:           4
        .value_kind:     by_value
      - .offset:         24
        .size:           4
        .value_kind:     hidden_block_count_x
      - .offset:         28
        .size:           4
        .value_kind:     hidden_block_count_y
      - .offset:         32
        .size:           4
        .value_kind:     hidden_block_count_z
      - .offset:         36
        .size:           2
        .value_kind:     hidden_group_size_x
      - .offset:         38
        .size:           2
        .value_kind:     hidden_group_size_y
      - .offset:         40
        .size:           2
        .value_kind:     hidden_group_size_z
      - .offset:         42
        .size:           2
        .value_kind:     hidden_remainder_x
      - .offset:         44
        .size:           2
        .value_kind:     hidden_remainder_y
      - .offset:         46
        .size:           2
        .value_kind:     hidden_remainder_z
      - .offset:         64
        .size:           8
        .value_kind:     hidden_global_offset_x
      - .offset:         72
        .size:           8
        .value_kind:     hidden_global_offset_y
      - .offset:         80
        .size:           8
        .value_kind:     hidden_global_offset_z
      - .offset:         88
        .size:           2
        .value_kind:     hidden_grid_dims
    .group_segment_fixed_size: 0
    .kernarg_segment_align: 8
    .kernarg_segment_size: 280
    .language:       OpenCL C
    .language_version:
      - 2
      - 0
    .max_flat_workgroup_size: 1024
    .name:           _ZN4vllm17activation_kernelIfTnPFT_RKS1_EXadL_ZNS_15gelu_new_kernelIfEES1_S3_EEEEvPS1_PS2_i
    .private_segment_fixed_size: 0
    .sgpr_count:     22
    .sgpr_spill_count: 0
    .symbol:         _ZN4vllm17activation_kernelIfTnPFT_RKS1_EXadL_ZNS_15gelu_new_kernelIfEES1_S3_EEEEvPS1_PS2_i.kd
    .uniform_work_group_size: 1
    .uses_dynamic_stack: false
    .vgpr_count:     16
    .vgpr_spill_count: 0
    .wavefront_size: 64
  - .args:
      - .actual_access:  write_only
        .address_space:  global
        .offset:         0
        .size:           8
        .value_kind:     global_buffer
      - .actual_access:  read_only
        .address_space:  global
        .offset:         8
        .size:           8
        .value_kind:     global_buffer
      - .offset:         16
        .size:           4
        .value_kind:     by_value
      - .offset:         24
        .size:           4
        .value_kind:     hidden_block_count_x
      - .offset:         28
        .size:           4
        .value_kind:     hidden_block_count_y
      - .offset:         32
        .size:           4
        .value_kind:     hidden_block_count_z
      - .offset:         36
        .size:           2
        .value_kind:     hidden_group_size_x
      - .offset:         38
        .size:           2
        .value_kind:     hidden_group_size_y
      - .offset:         40
        .size:           2
        .value_kind:     hidden_group_size_z
      - .offset:         42
        .size:           2
        .value_kind:     hidden_remainder_x
      - .offset:         44
        .size:           2
        .value_kind:     hidden_remainder_y
      - .offset:         46
        .size:           2
        .value_kind:     hidden_remainder_z
      - .offset:         64
        .size:           8
        .value_kind:     hidden_global_offset_x
      - .offset:         72
        .size:           8
        .value_kind:     hidden_global_offset_y
      - .offset:         80
        .size:           8
        .value_kind:     hidden_global_offset_z
      - .offset:         88
        .size:           2
        .value_kind:     hidden_grid_dims
    .group_segment_fixed_size: 0
    .kernarg_segment_align: 8
    .kernarg_segment_size: 280
    .language:       OpenCL C
    .language_version:
      - 2
      - 0
    .max_flat_workgroup_size: 1024
    .name:           _ZN4vllm17activation_kernelIN3c104HalfETnPFT_RKS3_EXadL_ZNS_15gelu_new_kernelIS2_EES3_S5_EEEEvPS3_PS4_i
    .private_segment_fixed_size: 0
    .sgpr_count:     24
    .sgpr_spill_count: 0
    .symbol:         _ZN4vllm17activation_kernelIN3c104HalfETnPFT_RKS3_EXadL_ZNS_15gelu_new_kernelIS2_EES3_S5_EEEEvPS3_PS4_i.kd
    .uniform_work_group_size: 1
    .uses_dynamic_stack: false
    .vgpr_count:     16
    .vgpr_spill_count: 0
    .wavefront_size: 64
  - .args:
      - .actual_access:  write_only
        .address_space:  global
        .offset:         0
        .size:           8
        .value_kind:     global_buffer
      - .actual_access:  read_only
        .address_space:  global
        .offset:         8
        .size:           8
        .value_kind:     global_buffer
      - .offset:         16
        .size:           4
        .value_kind:     by_value
      - .offset:         24
        .size:           4
        .value_kind:     hidden_block_count_x
      - .offset:         28
        .size:           4
        .value_kind:     hidden_block_count_y
      - .offset:         32
        .size:           4
        .value_kind:     hidden_block_count_z
      - .offset:         36
        .size:           2
        .value_kind:     hidden_group_size_x
      - .offset:         38
        .size:           2
        .value_kind:     hidden_group_size_y
      - .offset:         40
        .size:           2
        .value_kind:     hidden_group_size_z
      - .offset:         42
        .size:           2
        .value_kind:     hidden_remainder_x
      - .offset:         44
        .size:           2
        .value_kind:     hidden_remainder_y
      - .offset:         46
        .size:           2
        .value_kind:     hidden_remainder_z
      - .offset:         64
        .size:           8
        .value_kind:     hidden_global_offset_x
      - .offset:         72
        .size:           8
        .value_kind:     hidden_global_offset_y
      - .offset:         80
        .size:           8
        .value_kind:     hidden_global_offset_z
      - .offset:         88
        .size:           2
        .value_kind:     hidden_grid_dims
    .group_segment_fixed_size: 0
    .kernarg_segment_align: 8
    .kernarg_segment_size: 280
    .language:       OpenCL C
    .language_version:
      - 2
      - 0
    .max_flat_workgroup_size: 1024
    .name:           _ZN4vllm17activation_kernelIN3c108BFloat16ETnPFT_RKS3_EXadL_ZNS_15gelu_new_kernelIS2_EES3_S5_EEEEvPS3_PS4_i
    .private_segment_fixed_size: 0
    .sgpr_count:     24
    .sgpr_spill_count: 0
    .symbol:         _ZN4vllm17activation_kernelIN3c108BFloat16ETnPFT_RKS3_EXadL_ZNS_15gelu_new_kernelIS2_EES3_S5_EEEEvPS3_PS4_i.kd
    .uniform_work_group_size: 1
    .uses_dynamic_stack: false
    .vgpr_count:     18
    .vgpr_spill_count: 0
    .wavefront_size: 64
  - .args:
      - .actual_access:  write_only
        .address_space:  global
        .offset:         0
        .size:           8
        .value_kind:     global_buffer
      - .actual_access:  read_only
        .address_space:  global
        .offset:         8
        .size:           8
        .value_kind:     global_buffer
      - .offset:         16
        .size:           4
        .value_kind:     by_value
      - .offset:         24
        .size:           4
        .value_kind:     hidden_block_count_x
      - .offset:         28
        .size:           4
        .value_kind:     hidden_block_count_y
      - .offset:         32
        .size:           4
        .value_kind:     hidden_block_count_z
      - .offset:         36
        .size:           2
        .value_kind:     hidden_group_size_x
      - .offset:         38
        .size:           2
        .value_kind:     hidden_group_size_y
      - .offset:         40
        .size:           2
        .value_kind:     hidden_group_size_z
      - .offset:         42
        .size:           2
        .value_kind:     hidden_remainder_x
      - .offset:         44
        .size:           2
        .value_kind:     hidden_remainder_y
      - .offset:         46
        .size:           2
        .value_kind:     hidden_remainder_z
      - .offset:         64
        .size:           8
        .value_kind:     hidden_global_offset_x
      - .offset:         72
        .size:           8
        .value_kind:     hidden_global_offset_y
      - .offset:         80
        .size:           8
        .value_kind:     hidden_global_offset_z
      - .offset:         88
        .size:           2
        .value_kind:     hidden_grid_dims
    .group_segment_fixed_size: 0
    .kernarg_segment_align: 8
    .kernarg_segment_size: 280
    .language:       OpenCL C
    .language_version:
      - 2
      - 0
    .max_flat_workgroup_size: 1024
    .name:           _ZN4vllm17activation_kernelIfTnPFT_RKS1_EXadL_ZNS_16gelu_fast_kernelIfEES1_S3_EEEEvPS1_PS2_i
    .private_segment_fixed_size: 0
    .sgpr_count:     22
    .sgpr_spill_count: 0
    .symbol:         _ZN4vllm17activation_kernelIfTnPFT_RKS1_EXadL_ZNS_16gelu_fast_kernelIfEES1_S3_EEEEvPS1_PS2_i.kd
    .uniform_work_group_size: 1
    .uses_dynamic_stack: false
    .vgpr_count:     16
    .vgpr_spill_count: 0
    .wavefront_size: 64
  - .args:
      - .actual_access:  write_only
        .address_space:  global
        .offset:         0
        .size:           8
        .value_kind:     global_buffer
      - .actual_access:  read_only
        .address_space:  global
        .offset:         8
        .size:           8
        .value_kind:     global_buffer
      - .offset:         16
        .size:           4
        .value_kind:     by_value
      - .offset:         24
        .size:           4
        .value_kind:     hidden_block_count_x
      - .offset:         28
        .size:           4
        .value_kind:     hidden_block_count_y
      - .offset:         32
        .size:           4
        .value_kind:     hidden_block_count_z
      - .offset:         36
        .size:           2
        .value_kind:     hidden_group_size_x
      - .offset:         38
        .size:           2
        .value_kind:     hidden_group_size_y
      - .offset:         40
        .size:           2
        .value_kind:     hidden_group_size_z
      - .offset:         42
        .size:           2
        .value_kind:     hidden_remainder_x
      - .offset:         44
        .size:           2
        .value_kind:     hidden_remainder_y
      - .offset:         46
        .size:           2
        .value_kind:     hidden_remainder_z
      - .offset:         64
        .size:           8
        .value_kind:     hidden_global_offset_x
      - .offset:         72
        .size:           8
        .value_kind:     hidden_global_offset_y
      - .offset:         80
        .size:           8
        .value_kind:     hidden_global_offset_z
      - .offset:         88
        .size:           2
        .value_kind:     hidden_grid_dims
    .group_segment_fixed_size: 0
    .kernarg_segment_align: 8
    .kernarg_segment_size: 280
    .language:       OpenCL C
    .language_version:
      - 2
      - 0
    .max_flat_workgroup_size: 1024
    .name:           _ZN4vllm17activation_kernelIN3c104HalfETnPFT_RKS3_EXadL_ZNS_16gelu_fast_kernelIS2_EES3_S5_EEEEvPS3_PS4_i
    .private_segment_fixed_size: 0
    .sgpr_count:     24
    .sgpr_spill_count: 0
    .symbol:         _ZN4vllm17activation_kernelIN3c104HalfETnPFT_RKS3_EXadL_ZNS_16gelu_fast_kernelIS2_EES3_S5_EEEEvPS3_PS4_i.kd
    .uniform_work_group_size: 1
    .uses_dynamic_stack: false
    .vgpr_count:     16
    .vgpr_spill_count: 0
    .wavefront_size: 64
  - .args:
      - .actual_access:  write_only
        .address_space:  global
        .offset:         0
        .size:           8
        .value_kind:     global_buffer
      - .actual_access:  read_only
        .address_space:  global
        .offset:         8
        .size:           8
        .value_kind:     global_buffer
      - .offset:         16
        .size:           4
        .value_kind:     by_value
      - .offset:         24
        .size:           4
        .value_kind:     hidden_block_count_x
      - .offset:         28
        .size:           4
        .value_kind:     hidden_block_count_y
      - .offset:         32
        .size:           4
        .value_kind:     hidden_block_count_z
      - .offset:         36
        .size:           2
        .value_kind:     hidden_group_size_x
      - .offset:         38
        .size:           2
        .value_kind:     hidden_group_size_y
      - .offset:         40
        .size:           2
        .value_kind:     hidden_group_size_z
      - .offset:         42
        .size:           2
        .value_kind:     hidden_remainder_x
      - .offset:         44
        .size:           2
        .value_kind:     hidden_remainder_y
      - .offset:         46
        .size:           2
        .value_kind:     hidden_remainder_z
      - .offset:         64
        .size:           8
        .value_kind:     hidden_global_offset_x
      - .offset:         72
        .size:           8
        .value_kind:     hidden_global_offset_y
      - .offset:         80
        .size:           8
        .value_kind:     hidden_global_offset_z
      - .offset:         88
        .size:           2
        .value_kind:     hidden_grid_dims
    .group_segment_fixed_size: 0
    .kernarg_segment_align: 8
    .kernarg_segment_size: 280
    .language:       OpenCL C
    .language_version:
      - 2
      - 0
    .max_flat_workgroup_size: 1024
    .name:           _ZN4vllm17activation_kernelIN3c108BFloat16ETnPFT_RKS3_EXadL_ZNS_16gelu_fast_kernelIS2_EES3_S5_EEEEvPS3_PS4_i
    .private_segment_fixed_size: 0
    .sgpr_count:     24
    .sgpr_spill_count: 0
    .symbol:         _ZN4vllm17activation_kernelIN3c108BFloat16ETnPFT_RKS3_EXadL_ZNS_16gelu_fast_kernelIS2_EES3_S5_EEEEvPS3_PS4_i.kd
    .uniform_work_group_size: 1
    .uses_dynamic_stack: false
    .vgpr_count:     18
    .vgpr_spill_count: 0
    .wavefront_size: 64
  - .args:
      - .actual_access:  write_only
        .address_space:  global
        .offset:         0
        .size:           8
        .value_kind:     global_buffer
      - .actual_access:  read_only
        .address_space:  global
        .offset:         8
        .size:           8
        .value_kind:     global_buffer
      - .offset:         16
        .size:           4
        .value_kind:     by_value
      - .offset:         24
        .size:           4
        .value_kind:     hidden_block_count_x
      - .offset:         28
        .size:           4
        .value_kind:     hidden_block_count_y
      - .offset:         32
        .size:           4
        .value_kind:     hidden_block_count_z
      - .offset:         36
        .size:           2
        .value_kind:     hidden_group_size_x
      - .offset:         38
        .size:           2
        .value_kind:     hidden_group_size_y
      - .offset:         40
        .size:           2
        .value_kind:     hidden_group_size_z
      - .offset:         42
        .size:           2
        .value_kind:     hidden_remainder_x
      - .offset:         44
        .size:           2
        .value_kind:     hidden_remainder_y
      - .offset:         46
        .size:           2
        .value_kind:     hidden_remainder_z
      - .offset:         64
        .size:           8
        .value_kind:     hidden_global_offset_x
      - .offset:         72
        .size:           8
        .value_kind:     hidden_global_offset_y
      - .offset:         80
        .size:           8
        .value_kind:     hidden_global_offset_z
      - .offset:         88
        .size:           2
        .value_kind:     hidden_grid_dims
    .group_segment_fixed_size: 0
    .kernarg_segment_align: 8
    .kernarg_segment_size: 280
    .language:       OpenCL C
    .language_version:
      - 2
      - 0
    .max_flat_workgroup_size: 1024
    .name:           _ZN4vllm17activation_kernelIfTnPFT_RKS1_EXadL_ZNS_17gelu_quick_kernelIfEES1_S3_EEEEvPS1_PS2_i
    .private_segment_fixed_size: 0
    .sgpr_count:     18
    .sgpr_spill_count: 0
    .symbol:         _ZN4vllm17activation_kernelIfTnPFT_RKS1_EXadL_ZNS_17gelu_quick_kernelIfEES1_S3_EEEEvPS1_PS2_i.kd
    .uniform_work_group_size: 1
    .uses_dynamic_stack: false
    .vgpr_count:     14
    .vgpr_spill_count: 0
    .wavefront_size: 64
  - .args:
      - .actual_access:  write_only
        .address_space:  global
        .offset:         0
        .size:           8
        .value_kind:     global_buffer
      - .actual_access:  read_only
        .address_space:  global
        .offset:         8
        .size:           8
        .value_kind:     global_buffer
      - .offset:         16
        .size:           4
        .value_kind:     by_value
      - .offset:         24
        .size:           4
        .value_kind:     hidden_block_count_x
      - .offset:         28
        .size:           4
        .value_kind:     hidden_block_count_y
      - .offset:         32
        .size:           4
        .value_kind:     hidden_block_count_z
      - .offset:         36
        .size:           2
        .value_kind:     hidden_group_size_x
      - .offset:         38
        .size:           2
        .value_kind:     hidden_group_size_y
      - .offset:         40
        .size:           2
        .value_kind:     hidden_group_size_z
      - .offset:         42
        .size:           2
        .value_kind:     hidden_remainder_x
      - .offset:         44
        .size:           2
        .value_kind:     hidden_remainder_y
      - .offset:         46
        .size:           2
        .value_kind:     hidden_remainder_z
      - .offset:         64
        .size:           8
        .value_kind:     hidden_global_offset_x
      - .offset:         72
        .size:           8
        .value_kind:     hidden_global_offset_y
      - .offset:         80
        .size:           8
        .value_kind:     hidden_global_offset_z
      - .offset:         88
        .size:           2
        .value_kind:     hidden_grid_dims
    .group_segment_fixed_size: 0
    .kernarg_segment_align: 8
    .kernarg_segment_size: 280
    .language:       OpenCL C
    .language_version:
      - 2
      - 0
    .max_flat_workgroup_size: 1024
    .name:           _ZN4vllm17activation_kernelIN3c104HalfETnPFT_RKS3_EXadL_ZNS_17gelu_quick_kernelIS2_EES3_S5_EEEEvPS3_PS4_i
    .private_segment_fixed_size: 0
    .sgpr_count:     22
    .sgpr_spill_count: 0
    .symbol:         _ZN4vllm17activation_kernelIN3c104HalfETnPFT_RKS3_EXadL_ZNS_17gelu_quick_kernelIS2_EES3_S5_EEEEvPS3_PS4_i.kd
    .uniform_work_group_size: 1
    .uses_dynamic_stack: false
    .vgpr_count:     21
    .vgpr_spill_count: 0
    .wavefront_size: 64
  - .args:
      - .actual_access:  write_only
        .address_space:  global
        .offset:         0
        .size:           8
        .value_kind:     global_buffer
      - .actual_access:  read_only
        .address_space:  global
        .offset:         8
        .size:           8
        .value_kind:     global_buffer
      - .offset:         16
        .size:           4
        .value_kind:     by_value
      - .offset:         24
        .size:           4
        .value_kind:     hidden_block_count_x
      - .offset:         28
        .size:           4
        .value_kind:     hidden_block_count_y
      - .offset:         32
        .size:           4
        .value_kind:     hidden_block_count_z
      - .offset:         36
        .size:           2
        .value_kind:     hidden_group_size_x
      - .offset:         38
        .size:           2
        .value_kind:     hidden_group_size_y
      - .offset:         40
        .size:           2
        .value_kind:     hidden_group_size_z
      - .offset:         42
        .size:           2
        .value_kind:     hidden_remainder_x
      - .offset:         44
        .size:           2
        .value_kind:     hidden_remainder_y
      - .offset:         46
        .size:           2
        .value_kind:     hidden_remainder_z
      - .offset:         64
        .size:           8
        .value_kind:     hidden_global_offset_x
      - .offset:         72
        .size:           8
        .value_kind:     hidden_global_offset_y
      - .offset:         80
        .size:           8
        .value_kind:     hidden_global_offset_z
      - .offset:         88
        .size:           2
        .value_kind:     hidden_grid_dims
    .group_segment_fixed_size: 0
    .kernarg_segment_align: 8
    .kernarg_segment_size: 280
    .language:       OpenCL C
    .language_version:
      - 2
      - 0
    .max_flat_workgroup_size: 1024
    .name:           _ZN4vllm17activation_kernelIN3c108BFloat16ETnPFT_RKS3_EXadL_ZNS_17gelu_quick_kernelIS2_EES3_S5_EEEEvPS3_PS4_i
    .private_segment_fixed_size: 0
    .sgpr_count:     24
    .sgpr_spill_count: 0
    .symbol:         _ZN4vllm17activation_kernelIN3c108BFloat16ETnPFT_RKS3_EXadL_ZNS_17gelu_quick_kernelIS2_EES3_S5_EEEEvPS3_PS4_i.kd
    .uniform_work_group_size: 1
    .uses_dynamic_stack: false
    .vgpr_count:     23
    .vgpr_spill_count: 0
    .wavefront_size: 64
amdhsa.target:   amdgcn-amd-amdhsa--gfx906
amdhsa.version:
  - 1
  - 2
...

	.end_amdgpu_metadata
